;; amdgpu-corpus repo=ROCm/rocFFT kind=compiled arch=gfx950 opt=O3
	.text
	.amdgcn_target "amdgcn-amd-amdhsa--gfx950"
	.amdhsa_code_object_version 6
	.protected	fft_rtc_fwd_len289_factors_17_17_wgs_119_tpt_17_dp_op_CI_CI_sbrc_z_xy_diag_dirReg ; -- Begin function fft_rtc_fwd_len289_factors_17_17_wgs_119_tpt_17_dp_op_CI_CI_sbrc_z_xy_diag_dirReg
	.globl	fft_rtc_fwd_len289_factors_17_17_wgs_119_tpt_17_dp_op_CI_CI_sbrc_z_xy_diag_dirReg
	.p2align	8
	.type	fft_rtc_fwd_len289_factors_17_17_wgs_119_tpt_17_dp_op_CI_CI_sbrc_z_xy_diag_dirReg,@function
fft_rtc_fwd_len289_factors_17_17_wgs_119_tpt_17_dp_op_CI_CI_sbrc_z_xy_diag_dirReg: ; @fft_rtc_fwd_len289_factors_17_17_wgs_119_tpt_17_dp_op_CI_CI_sbrc_z_xy_diag_dirReg
; %bb.0:
	s_load_dwordx8 s[4:11], s[0:1], 0x0
	s_mov_b32 s17, 0
	s_movk_i32 s33, 0x121
	v_mov_b32_e32 v71, 0
	v_mul_lo_u16_e32 v88, 7, v0
	s_waitcnt lgkmcnt(0)
	s_load_dwordx4 s[12:15], s[8:9], 0x8
	v_lshl_add_u32 v88, v88, 4, 0
	v_mov_b32_e32 v72, 7
	s_mov_b32 s34, 0x5d8e7cdc
	s_mov_b32 s40, 0x2a9d6da3
	s_waitcnt lgkmcnt(0)
	s_add_i32 s3, s12, -1
	s_mul_hi_u32 s8, s3, 0x24924925
	s_sub_i32 s3, s3, s8
	s_lshr_b32 s3, s3, 1
	s_add_i32 s3, s3, s8
	s_lshr_b32 s3, s3, 2
	s_add_i32 s3, s3, 1
	s_mul_i32 s3, s3, s14
	v_cvt_f32_u32_e32 v1, s3
	s_load_dwordx4 s[12:15], s[10:11], 0x0
	s_load_dword s8, s[10:11], 0x10
	s_sub_i32 s9, 0, s3
	s_mov_b32 s42, 0x7c9e640b
	v_rcp_iflag_f32_e32 v1, v1
	s_mov_b32 s38, 0xeb564b22
	s_mov_b32 s26, 0x923c349f
	;; [unrolled: 1-line block ×3, first 2 shown]
	v_mul_f32_e32 v1, 0x4f7ffffe, v1
	v_cvt_u32_f32_e32 v1, v1
	s_mov_b32 s36, 0x4363dd80
	s_mov_b32 s48, 0xacd6c6b4
	;; [unrolled: 1-line block ×3, first 2 shown]
	s_waitcnt lgkmcnt(0)
	v_readfirstlane_b32 s15, v1
	s_mul_i32 s9, s9, s15
	s_mul_hi_u32 s9, s15, s9
	s_add_i32 s15, s15, s9
	s_mul_hi_u32 s9, s2, s15
	s_mul_i32 s15, s9, s3
	s_sub_i32 s15, s2, s15
	s_add_i32 s16, s9, 1
	s_sub_i32 s18, s15, s3
	s_cmp_ge_u32 s15, s3
	s_cselect_b32 s9, s16, s9
	s_cselect_b32 s15, s18, s15
	s_add_i32 s16, s9, 1
	s_cmp_ge_u32 s15, s3
	s_cselect_b32 s66, s16, s9
	s_mul_i32 s3, s66, s3
	s_sub_i32 s2, s2, s3
	s_mul_hi_u32 s3, s2, 0xf0f0f0f1
	s_lshr_b32 s3, s3, 4
	s_lshl_b64 s[18:19], s[6:7], 3
	s_mul_i32 s6, s3, 17
	s_sub_i32 s2, s2, s6
	s_add_i32 s3, s3, s2
	s_mul_i32 s6, s2, 7
	s_mul_hi_u32 s2, s3, 0xe2c4a689
	s_lshr_b32 s2, s2, 8
	s_mulk_i32 s2, 0x121
	s_sub_i32 s7, s3, s2
	s_mul_i32 s9, s6, s14
	s_mul_i32 s2, s7, s8
	s_add_i32 s16, s2, s9
	s_add_u32 s2, s10, s18
	s_addc_u32 s3, s11, s19
	s_load_dwordx2 s[22:23], s[2:3], 0x0
	s_load_dwordx4 s[8:11], s[0:1], 0x58
	s_load_dwordx2 s[20:21], s[0:1], 0x20
	v_mad_u64_u32 v[2:3], s[0:1], s12, v0, 0
	s_waitcnt lgkmcnt(0)
	s_mul_i32 s0, s23, s66
	s_mul_hi_u32 s1, s22, s66
	s_add_i32 s1, s1, s0
	s_add_u32 s2, s20, s18
	s_addc_u32 s3, s21, s19
	s_load_dwordx2 s[18:19], s[2:3], 0x0
	v_mov_b32_e32 v4, v3
	v_mad_u64_u32 v[4:5], s[2:3], s13, v0, v[4:5]
	s_mul_i32 s0, s22, s66
	s_waitcnt lgkmcnt(0)
	s_mul_i32 s2, s19, s66
	s_mul_hi_u32 s3, s18, s66
	s_lshl_b64 s[0:1], s[0:1], 4
	s_add_i32 s15, s3, s2
	s_add_u32 s2, s8, s0
	s_addc_u32 s3, s9, s1
	s_lshl_b64 s[0:1], s[16:17], 4
	s_add_u32 s0, s2, s0
	v_mov_b32_e32 v3, v4
	s_addc_u32 s1, s3, s1
	v_add_u16_e32 v1, 0x77, v0
	v_lshl_add_u64 v[10:11], v[2:3], 4, s[0:1]
	v_mad_u64_u32 v[2:3], s[2:3], s12, v1, 0
	v_mov_b32_e32 v4, v3
	v_mad_u64_u32 v[4:5], s[2:3], s13, v1, v[4:5]
	s_mov_b32 s2, 0x16500ee
	v_mov_b32_e32 v3, v4
	v_pk_add_u16 v1, v0, s2 op_sel_hi:[0,1]
	v_lshl_add_u64 v[12:13], v[2:3], 4, s[0:1]
	global_load_dwordx4 v[6:9], v[10:11], off
	global_load_dwordx4 v[2:5], v[12:13], off
	v_and_b32_e32 v10, 0x1ff, v1
	s_movk_i32 s3, 0x717
	v_mul_u32_u24_e32 v10, 0x717, v10
	v_lshrrev_b32_e32 v14, 19, v10
	v_mul_u32_u24_sdwa v10, v1, s3 dst_sel:DWORD dst_unused:UNUSED_PAD src0_sel:WORD_1 src1_sel:DWORD
	v_lshrrev_b32_e32 v15, 19, v10
	s_mov_b32 s2, 0x5040100
	v_perm_b32 v73, v15, v14, s2
	v_pk_mul_lo_u16 v10, v73, s33 op_sel_hi:[1,0]
	v_mul_lo_u32 v70, s14, v14
	v_pk_sub_i16 v1, v1, v10
	s_mov_b32 s24, 0x370991
	v_and_b32_e32 v13, 0xffff, v1
	v_mad_u64_u32 v[10:11], s[8:9], s12, v13, 0
	v_mov_b32_e32 v12, v11
	v_mad_u64_u32 v[12:13], s[8:9], s13, v13, v[12:13]
	v_mov_b32_e32 v11, v12
	v_lshl_add_u64 v[10:11], v[10:11], 4, s[0:1]
	v_lshrrev_b32_e32 v13, 16, v1
	v_lshl_add_u64 v[18:19], v[70:71], 4, v[10:11]
	v_mad_u64_u32 v[10:11], s[8:9], s12, v13, 0
	v_mov_b32_e32 v12, v11
	v_mad_u64_u32 v[12:13], s[8:9], s13, v13, v[12:13]
	v_mov_b32_e32 v11, v12
	v_mul_lo_u32 v70, s14, v15
	v_lshl_add_u64 v[10:11], v[10:11], 4, s[0:1]
	s_mov_b32 s8, 0x25301dc
	v_lshl_add_u64 v[20:21], v[70:71], 4, v[10:11]
	global_load_dwordx4 v[14:17], v[18:19], off
	global_load_dwordx4 v[10:13], v[20:21], off
	v_pk_add_u16 v18, v0, s8 op_sel_hi:[0,1]
	v_and_b32_e32 v19, 0x3ff, v18
	v_mul_u32_u24_e32 v19, 0x717, v19
	v_lshrrev_b32_e32 v22, 19, v19
	v_mul_u32_u24_sdwa v19, v18, s3 dst_sel:DWORD dst_unused:UNUSED_PAD src0_sel:WORD_1 src1_sel:DWORD
	v_lshrrev_b32_e32 v23, 19, v19
	v_perm_b32 v74, v23, v22, s2
	v_pk_mul_lo_u16 v19, v74, s33 op_sel_hi:[1,0]
	v_mul_lo_u32 v70, s14, v22
	v_pk_sub_i16 v75, v18, v19
	v_pk_mad_u16 v1, v1, 7, v73 op_sel_hi:[1,0,1]
	v_and_b32_e32 v21, 0xffff, v75
	v_mad_u64_u32 v[18:19], s[8:9], s12, v21, 0
	v_mov_b32_e32 v20, v19
	v_mad_u64_u32 v[20:21], s[8:9], s13, v21, v[20:21]
	v_mov_b32_e32 v19, v20
	v_lshl_add_u64 v[18:19], v[18:19], 4, s[0:1]
	v_lshrrev_b32_e32 v21, 16, v75
	v_lshl_add_u64 v[26:27], v[70:71], 4, v[18:19]
	v_mad_u64_u32 v[18:19], s[8:9], s12, v21, 0
	v_mov_b32_e32 v20, v19
	v_mad_u64_u32 v[20:21], s[8:9], s13, v21, v[20:21]
	v_mov_b32_e32 v19, v20
	v_mul_lo_u32 v70, s14, v23
	v_lshl_add_u64 v[18:19], v[18:19], 4, s[0:1]
	s_mov_b32 s8, 0x34102ca
	v_lshl_add_u64 v[28:29], v[70:71], 4, v[18:19]
	global_load_dwordx4 v[22:25], v[26:27], off
	global_load_dwordx4 v[18:21], v[28:29], off
	v_pk_add_u16 v26, v0, s8 op_sel_hi:[0,1]
	v_and_b32_e32 v27, 0x3ff, v26
	v_mul_u32_u24_e32 v27, 0x717, v27
	v_lshrrev_b32_e32 v30, 19, v27
	v_mul_u32_u24_sdwa v27, v26, s3 dst_sel:DWORD dst_unused:UNUSED_PAD src0_sel:WORD_1 src1_sel:DWORD
	v_lshrrev_b32_e32 v31, 19, v27
	v_perm_b32 v76, v31, v30, s2
	v_pk_mul_lo_u16 v27, v76, s33 op_sel_hi:[1,0]
	v_mul_lo_u32 v70, s14, v30
	v_pk_sub_i16 v77, v26, v27
	s_mov_b32 s3, 0x42f03b8
	v_and_b32_e32 v29, 0xffff, v77
	v_mad_u64_u32 v[26:27], s[8:9], s12, v29, 0
	v_mov_b32_e32 v28, v27
	v_mad_u64_u32 v[28:29], s[8:9], s13, v29, v[28:29]
	v_mov_b32_e32 v27, v28
	v_lshl_add_u64 v[26:27], v[26:27], 4, s[0:1]
	v_lshrrev_b32_e32 v29, 16, v77
	v_lshl_add_u64 v[34:35], v[70:71], 4, v[26:27]
	v_mad_u64_u32 v[26:27], s[8:9], s12, v29, 0
	v_mov_b32_e32 v28, v27
	v_mad_u64_u32 v[28:29], s[8:9], s13, v29, v[28:29]
	v_mov_b32_e32 v27, v28
	v_mul_lo_u32 v70, s14, v31
	v_lshl_add_u64 v[26:27], v[26:27], 4, s[0:1]
	v_lshl_add_u64 v[36:37], v[70:71], 4, v[26:27]
	global_load_dwordx4 v[30:33], v[34:35], off
	global_load_dwordx4 v[26:29], v[36:37], off
	v_pk_add_u16 v34, v0, s3 op_sel_hi:[0,1]
	v_and_b32_e32 v35, 0x7ff, v34
	v_mul_u32_u24_e32 v35, 0x717, v35
	s_movk_i32 s3, 0xe2d
	v_lshrrev_b32_e32 v38, 19, v35
	v_mul_u32_u24_sdwa v35, v34, s3 dst_sel:DWORD dst_unused:UNUSED_PAD src0_sel:WORD_1 src1_sel:DWORD
	v_lshrrev_b32_e32 v39, 20, v35
	v_perm_b32 v78, v39, v38, s2
	v_pk_mul_lo_u16 v35, v78, s33 op_sel_hi:[1,0]
	v_mul_lo_u32 v70, s14, v38
	v_pk_sub_i16 v79, v34, v35
	s_mov_b32 s41, 0xbfe58eea
	v_and_b32_e32 v37, 0xffff, v79
	v_mad_u64_u32 v[34:35], s[8:9], s12, v37, 0
	v_mov_b32_e32 v36, v35
	v_mad_u64_u32 v[36:37], s[8:9], s13, v37, v[36:37]
	v_mov_b32_e32 v35, v36
	v_lshl_add_u64 v[34:35], v[34:35], 4, s[0:1]
	v_lshrrev_b32_e32 v37, 16, v79
	v_lshl_add_u64 v[42:43], v[70:71], 4, v[34:35]
	v_mad_u64_u32 v[34:35], s[8:9], s12, v37, 0
	v_mov_b32_e32 v36, v35
	v_mad_u64_u32 v[36:37], s[8:9], s13, v37, v[36:37]
	v_mov_b32_e32 v35, v36
	v_mul_lo_u32 v70, s14, v39
	v_lshl_add_u64 v[34:35], v[34:35], 4, s[0:1]
	s_mov_b32 s8, 0x51d04a6
	v_lshl_add_u64 v[44:45], v[70:71], 4, v[34:35]
	global_load_dwordx4 v[34:37], v[42:43], off
	global_load_dwordx4 v[38:41], v[44:45], off
	v_pk_add_u16 v42, v0, s8 op_sel_hi:[0,1]
	v_and_b32_e32 v43, 0x5ff, v42
	v_mul_u32_u24_e32 v43, 0xe2d, v43
	v_lshrrev_b32_e32 v46, 20, v43
	v_mul_u32_u24_sdwa v43, v42, s3 dst_sel:DWORD dst_unused:UNUSED_PAD src0_sel:WORD_1 src1_sel:DWORD
	v_lshrrev_b32_e32 v47, 20, v43
	v_perm_b32 v80, v47, v46, s2
	v_pk_mul_lo_u16 v43, v80, s33 op_sel_hi:[1,0]
	v_mul_lo_u32 v70, s14, v46
	v_pk_sub_i16 v81, v42, v43
	s_mov_b32 s43, 0xbfeca52d
	v_and_b32_e32 v45, 0xffff, v81
	v_mad_u64_u32 v[42:43], s[8:9], s12, v45, 0
	v_mov_b32_e32 v44, v43
	v_mad_u64_u32 v[44:45], s[8:9], s13, v45, v[44:45]
	v_mov_b32_e32 v43, v44
	v_lshl_add_u64 v[42:43], v[42:43], 4, s[0:1]
	v_lshrrev_b32_e32 v45, 16, v81
	v_lshl_add_u64 v[50:51], v[70:71], 4, v[42:43]
	v_mad_u64_u32 v[42:43], s[8:9], s12, v45, 0
	v_mov_b32_e32 v44, v43
	v_mad_u64_u32 v[44:45], s[8:9], s13, v45, v[44:45]
	v_mov_b32_e32 v43, v44
	v_mul_lo_u32 v70, s14, v47
	v_lshl_add_u64 v[42:43], v[42:43], 4, s[0:1]
	s_mov_b32 s8, 0x60b0594
	v_lshl_add_u64 v[52:53], v[70:71], 4, v[42:43]
	global_load_dwordx4 v[42:45], v[50:51], off
	global_load_dwordx4 v[46:49], v[52:53], off
	v_pk_add_u16 v50, v0, s8 op_sel_hi:[0,1]
	v_and_b32_e32 v51, 0x7ff, v50
	v_mul_u32_u24_e32 v51, 0xe2d, v51
	;; [unrolled: 29-line block ×3, first 2 shown]
	v_lshrrev_b32_e32 v62, 20, v59
	v_mul_u32_u24_sdwa v59, v58, s3 dst_sel:DWORD dst_unused:UNUSED_PAD src0_sel:WORD_1 src1_sel:DWORD
	v_lshrrev_b32_e32 v63, 20, v59
	v_perm_b32 v84, v63, v62, s2
	v_pk_mul_lo_u16 v59, v84, s33 op_sel_hi:[1,0]
	v_mul_lo_u32 v70, s14, v62
	v_pk_sub_i16 v85, v58, v59
	s_mov_b32 s8, 0x3259b75e
	v_and_b32_e32 v61, 0xffff, v85
	v_mad_u64_u32 v[58:59], s[2:3], s12, v61, 0
	v_mov_b32_e32 v60, v59
	v_mad_u64_u32 v[60:61], s[2:3], s13, v61, v[60:61]
	v_mov_b32_e32 v59, v60
	v_lshl_add_u64 v[58:59], v[58:59], 4, s[0:1]
	v_lshrrev_b32_e32 v61, 16, v85
	v_lshl_add_u64 v[66:67], v[70:71], 4, v[58:59]
	v_mad_u64_u32 v[58:59], s[2:3], s12, v61, 0
	v_mov_b32_e32 v60, v59
	v_mad_u64_u32 v[60:61], s[2:3], s13, v61, v[60:61]
	v_mov_b32_e32 v59, v60
	v_mul_lo_u32 v70, s14, v63
	v_lshl_add_u64 v[58:59], v[58:59], 4, s[0:1]
	v_lshl_add_u64 v[68:69], v[70:71], 4, v[58:59]
	global_load_dwordx4 v[58:61], v[66:67], off
	global_load_dwordx4 v[62:65], v[68:69], off
	v_add_u16_e32 v66, 0x770, v0
	v_mul_u32_u24_e32 v67, 0x717, v66
	v_lshrrev_b32_e32 v86, 19, v67
	v_mul_lo_u16_e32 v67, 0x121, v86
	v_sub_u16_e32 v87, v66, v67
	v_mad_u64_u32 v[66:67], s[2:3], s12, v87, 0
	v_mov_b32_e32 v68, v67
	v_mad_u64_u32 v[68:69], s[2:3], s13, v87, v[68:69]
	v_mov_b32_e32 v67, v68
	v_mul_lo_u32 v70, s14, v86
	v_lshl_add_u64 v[66:67], v[66:67], 4, s[0:1]
	v_lshl_add_u64 v[66:67], v[70:71], 4, v[66:67]
	global_load_dwordx4 v[66:69], v[66:67], off
	s_load_dwordx4 s[0:3], s[20:21], 0x0
	s_load_dword s16, s[20:21], 0x10
	s_waitcnt vmcnt(16)
	ds_write_b128 v88, v[6:9]
	v_mov_b32_e32 v6, 0x341
	v_mad_legacy_u16 v6, v0, 7, v6
	v_lshl_add_u32 v6, v6, 4, 0
	s_waitcnt vmcnt(15)
	ds_write_b128 v6, v[2:5]
	v_and_b32_e32 v2, 0xffff, v1
	v_bfe_u32 v1, v1, 16, 16
	v_lshl_add_u32 v2, v2, 4, 0
	v_lshl_add_u32 v1, v1, 4, 0
	s_waitcnt vmcnt(14)
	ds_write_b128 v2, v[14:17]
	s_waitcnt vmcnt(13)
	ds_write_b128 v1, v[10:13]
	v_pk_mad_u16 v1, v75, 7, v74 op_sel_hi:[1,0,1]
	v_mul_u32_u24_e32 v70, 0x2493, v0
	v_and_b32_e32 v2, 0xffff, v1
	v_bfe_u32 v1, v1, 16, 16
	v_lshl_add_u32 v2, v2, 4, 0
	v_lshl_add_u32 v1, v1, 4, 0
	s_waitcnt vmcnt(12)
	ds_write_b128 v2, v[22:25]
	s_waitcnt vmcnt(11)
	ds_write_b128 v1, v[18:21]
	v_pk_mad_u16 v1, v77, 7, v76 op_sel_hi:[1,0,1]
	v_mul_lo_u16_sdwa v72, v70, v72 dst_sel:DWORD dst_unused:UNUSED_PAD src0_sel:WORD_1 src1_sel:DWORD
	v_and_b32_e32 v2, 0xffff, v1
	v_bfe_u32 v1, v1, 16, 16
	v_lshl_add_u32 v2, v2, 4, 0
	v_lshl_add_u32 v1, v1, 4, 0
	s_waitcnt vmcnt(10)
	ds_write_b128 v2, v[30:33]
	s_waitcnt vmcnt(9)
	ds_write_b128 v1, v[26:29]
	v_pk_mad_u16 v1, v79, 7, v78 op_sel_hi:[1,0,1]
	v_sub_u16_e32 v72, v0, v72
	v_and_b32_e32 v2, 0xffff, v1
	v_bfe_u32 v1, v1, 16, 16
	v_lshl_add_u32 v2, v2, 4, 0
	v_lshl_add_u32 v1, v1, 4, 0
	s_waitcnt vmcnt(8)
	ds_write_b128 v2, v[34:37]
	s_waitcnt vmcnt(7)
	ds_write_b128 v1, v[38:41]
	v_pk_mad_u16 v1, v81, 7, v80 op_sel_hi:[1,0,1]
	s_waitcnt lgkmcnt(0)
	s_movk_i32 s3, 0x70
	v_and_b32_e32 v2, 0xffff, v1
	v_bfe_u32 v1, v1, 16, 16
	v_lshl_add_u32 v2, v2, 4, 0
	v_lshl_add_u32 v1, v1, 4, 0
	s_waitcnt vmcnt(6)
	ds_write_b128 v2, v[42:45]
	s_waitcnt vmcnt(5)
	ds_write_b128 v1, v[46:49]
	v_pk_mad_u16 v1, v83, 7, v82 op_sel_hi:[1,0,1]
	v_lshlrev_b32_e32 v73, 4, v72
	v_and_b32_e32 v2, 0xffff, v1
	v_bfe_u32 v1, v1, 16, 16
	v_lshl_add_u32 v2, v2, 4, 0
	v_lshl_add_u32 v1, v1, 4, 0
	s_waitcnt vmcnt(4)
	ds_write_b128 v2, v[50:53]
	s_waitcnt vmcnt(3)
	ds_write_b128 v1, v[54:57]
	v_pk_mad_u16 v1, v85, 7, v84 op_sel_hi:[1,0,1]
	s_mov_b32 s20, 0x75d4884
	v_and_b32_e32 v2, 0xffff, v1
	v_bfe_u32 v1, v1, 16, 16
	v_lshl_add_u32 v2, v2, 4, 0
	v_lshl_add_u32 v1, v1, 4, 0
	s_mov_b32 s12, 0x2b2883cd
	s_mov_b32 s27, 0xbfeec746
	;; [unrolled: 1-line block ×5, first 2 shown]
	s_waitcnt vmcnt(2)
	ds_write_b128 v2, v[58:61]
	s_waitcnt vmcnt(1)
	ds_write_b128 v1, v[62:65]
	v_mad_legacy_u16 v1, v87, 7, v86
	v_lshl_add_u32 v1, v1, 4, 0
	s_mov_b32 s37, 0xbfe0d888
	s_mov_b32 s44, 0x910ea3b9
	;; [unrolled: 1-line block ×12, first 2 shown]
	s_waitcnt vmcnt(0)
	ds_write_b128 v1, v[66:69]
	v_mul_u32_u24_sdwa v1, v70, s3 dst_sel:DWORD dst_unused:UNUSED_PAD src0_sel:WORD_1 src1_sel:DWORD
	v_add3_u32 v1, 0, v1, v73
	s_waitcnt lgkmcnt(0)
	s_barrier
	ds_read_b128 v[38:41], v1
	ds_read_b128 v[74:77], v1 offset:1904
	ds_read_b128 v[58:61], v1 offset:3808
	;; [unrolled: 1-line block ×16, first 2 shown]
	s_waitcnt lgkmcnt(14)
	v_add_f64 v[4:5], v[40:41], v[76:77]
	v_add_f64 v[2:3], v[38:39], v[74:75]
	;; [unrolled: 1-line block ×4, first 2 shown]
	s_waitcnt lgkmcnt(13)
	v_add_f64 v[4:5], v[4:5], v[52:53]
	v_add_f64 v[2:3], v[2:3], v[50:51]
	s_waitcnt lgkmcnt(12)
	v_add_f64 v[4:5], v[4:5], v[44:45]
	v_add_f64 v[2:3], v[2:3], v[42:43]
	;; [unrolled: 3-line block ×12, first 2 shown]
	s_waitcnt lgkmcnt(1)
	v_add_f64 v[4:5], v[4:5], v[64:65]
	s_waitcnt lgkmcnt(0)
	v_add_f64 v[88:89], v[74:75], v[78:79]
	v_add_f64 v[74:75], v[74:75], -v[78:79]
	v_add_f64 v[92:93], v[76:77], -v[80:81]
	v_add_f64 v[2:3], v[2:3], v[62:63]
	v_add_f64 v[4:5], v[4:5], v[80:81]
	;; [unrolled: 1-line block ×3, first 2 shown]
	v_mul_f64 v[68:69], v[92:93], s[34:35]
	v_mul_f64 v[80:81], v[74:75], s[34:35]
	;; [unrolled: 1-line block ×8, first 2 shown]
	v_add_f64 v[110:111], v[58:59], v[62:63]
	v_add_f64 v[58:59], v[58:59], -v[62:63]
	v_add_f64 v[62:63], v[52:53], v[56:57]
	v_add_f64 v[52:53], v[52:53], -v[56:57]
	;; [unrolled: 2-line block ×3, first 2 shown]
	v_mul_f64 v[46:47], v[92:93], s[36:37]
	v_mul_f64 v[92:93], v[92:93], s[48:49]
	;; [unrolled: 1-line block ×8, first 2 shown]
	v_add_f64 v[2:3], v[2:3], v[78:79]
	v_fma_f64 v[76:77], v[88:89], s[24:25], -v[68:69]
	v_fma_f64 v[78:79], s[24:25], v[66:67], v[80:81]
	v_fmac_f64_e32 v[68:69], s[24:25], v[88:89]
	v_fma_f64 v[80:81], v[66:67], s[24:25], -v[80:81]
	v_fma_f64 v[84:85], v[88:89], s[20:21], -v[82:83]
	v_fmac_f64_e32 v[82:83], s[20:21], v[88:89]
	v_fma_f64 v[90:91], v[88:89], s[12:13], -v[86:87]
	v_fmac_f64_e32 v[86:87], s[12:13], v[88:89]
	;; [unrolled: 2-line block ×5, first 2 shown]
	v_add_f64 v[108:109], v[60:61], v[64:65]
	v_add_f64 v[60:61], v[60:61], -v[64:65]
	v_add_f64 v[64:65], v[50:51], v[54:55]
	v_add_f64 v[50:51], v[50:51], -v[54:55]
	;; [unrolled: 2-line block ×3, first 2 shown]
	v_fma_f64 v[48:49], v[88:89], s[44:45], -v[46:47]
	v_fmac_f64_e32 v[46:47], s[44:45], v[88:89]
	v_fma_f64 v[112:113], v[88:89], s[46:47], -v[92:93]
	v_fmac_f64_e32 v[92:93], s[46:47], v[88:89]
	v_fma_f64 v[88:89], s[20:21], v[66:67], v[102:103]
	v_fma_f64 v[102:103], v[66:67], s[20:21], -v[102:103]
	v_fma_f64 v[116:117], s[12:13], v[66:67], v[114:115]
	v_fma_f64 v[114:115], v[66:67], s[12:13], -v[114:115]
	;; [unrolled: 2-line block ×7, first 2 shown]
	v_add_f64 v[74:75], v[38:39], v[76:77]
	v_add_f64 v[76:77], v[40:41], v[78:79]
	;; [unrolled: 1-line block ×18, first 2 shown]
	v_mul_f64 v[66:67], v[60:61], s[40:41]
	v_add_f64 v[68:69], v[38:39], v[68:69]
	v_add_f64 v[82:83], v[38:39], v[82:83]
	;; [unrolled: 1-line block ×14, first 2 shown]
	v_fma_f64 v[92:93], v[110:111], s[20:21], -v[66:67]
	v_add_f64 v[74:75], v[92:93], v[74:75]
	v_mul_f64 v[92:93], v[58:59], s[40:41]
	v_fmac_f64_e32 v[66:67], s[20:21], v[110:111]
	v_add_f64 v[66:67], v[66:67], v[68:69]
	v_fma_f64 v[68:69], v[108:109], s[20:21], -v[92:93]
	v_add_f64 v[68:69], v[68:69], v[78:79]
	v_mul_f64 v[78:79], v[60:61], s[38:39]
	v_fma_f64 v[134:135], s[20:21], v[108:109], v[92:93]
	v_fma_f64 v[92:93], v[110:111], s[8:9], -v[78:79]
	v_add_f64 v[80:81], v[92:93], v[80:81]
	v_mul_f64 v[92:93], v[58:59], s[38:39]
	v_fmac_f64_e32 v[78:79], s[8:9], v[110:111]
	v_add_f64 v[78:79], v[78:79], v[82:83]
	v_fma_f64 v[82:83], v[108:109], s[8:9], -v[92:93]
	v_add_f64 v[82:83], v[82:83], v[88:89]
	v_mul_f64 v[88:89], v[60:61], s[30:31]
	v_add_f64 v[76:77], v[134:135], v[76:77]
	v_fma_f64 v[134:135], s[8:9], v[108:109], v[92:93]
	v_fma_f64 v[92:93], v[110:111], s[28:29], -v[88:89]
	v_add_f64 v[90:91], v[92:93], v[90:91]
	v_mul_f64 v[92:93], v[58:59], s[30:31]
	v_fmac_f64_e32 v[88:89], s[28:29], v[110:111]
	v_add_f64 v[84:85], v[134:135], v[84:85]
	v_fma_f64 v[134:135], s[28:29], v[108:109], v[92:93]
	v_add_f64 v[86:87], v[88:89], v[86:87]
	v_fma_f64 v[88:89], v[108:109], s[28:29], -v[92:93]
	v_mul_f64 v[92:93], v[60:61], s[48:49]
	v_add_f64 v[88:89], v[88:89], v[114:115]
	v_fma_f64 v[114:115], v[110:111], s[46:47], -v[92:93]
	v_add_f64 v[96:97], v[114:115], v[96:97]
	v_mul_f64 v[114:115], v[58:59], s[48:49]
	v_fmac_f64_e32 v[92:93], s[46:47], v[110:111]
	s_mov_b32 s59, 0x3fe0d888
	s_mov_b32 s58, s36
	v_add_f64 v[102:103], v[134:135], v[102:103]
	v_fma_f64 v[134:135], s[46:47], v[108:109], v[114:115]
	v_add_f64 v[92:93], v[92:93], v[94:95]
	v_fma_f64 v[94:95], v[108:109], s[46:47], -v[114:115]
	v_mul_f64 v[114:115], v[60:61], s[58:59]
	v_add_f64 v[94:95], v[94:95], v[118:119]
	v_fma_f64 v[118:119], v[110:111], s[44:45], -v[114:115]
	v_add_f64 v[100:101], v[118:119], v[100:101]
	v_mul_f64 v[118:119], v[58:59], s[58:59]
	v_fmac_f64_e32 v[114:115], s[44:45], v[110:111]
	s_mov_b32 s57, 0x3feec746
	s_mov_b32 s56, s26
	;; [unrolled: 12-line block ×3, first 2 shown]
	v_add_f64 v[120:121], v[134:135], v[120:121]
	v_fma_f64 v[134:135], s[22:23], v[108:109], v[122:123]
	v_add_f64 v[104:105], v[118:119], v[104:105]
	v_fma_f64 v[118:119], v[108:109], s[22:23], -v[122:123]
	v_mul_f64 v[122:123], v[60:61], s[50:51]
	v_add_f64 v[118:119], v[118:119], v[126:127]
	v_fma_f64 v[126:127], v[110:111], s[12:13], -v[122:123]
	s_mov_b32 s53, 0x3fd71e95
	s_mov_b32 s52, s34
	v_add_f64 v[48:49], v[126:127], v[48:49]
	v_mul_f64 v[126:127], v[58:59], s[50:51]
	v_fmac_f64_e32 v[122:123], s[12:13], v[110:111]
	v_mul_f64 v[60:61], v[60:61], s[52:53]
	v_add_f64 v[124:125], v[134:135], v[124:125]
	v_fma_f64 v[134:135], s[12:13], v[108:109], v[126:127]
	v_add_f64 v[46:47], v[122:123], v[46:47]
	v_fma_f64 v[122:123], v[108:109], s[12:13], -v[126:127]
	v_fma_f64 v[126:127], v[110:111], s[24:25], -v[60:61]
	v_mul_f64 v[58:59], v[58:59], s[52:53]
	v_add_f64 v[112:113], v[126:127], v[112:113]
	v_fma_f64 v[126:127], s[24:25], v[108:109], v[58:59]
	v_fma_f64 v[58:59], v[108:109], s[24:25], -v[58:59]
	v_fmac_f64_e32 v[60:61], s[24:25], v[110:111]
	v_add_f64 v[40:41], v[58:59], v[40:41]
	v_mul_f64 v[58:59], v[52:53], s[42:43]
	v_add_f64 v[38:39], v[60:61], v[38:39]
	v_fma_f64 v[60:61], v[64:65], s[12:13], -v[58:59]
	v_add_f64 v[60:61], v[60:61], v[74:75]
	v_mul_f64 v[74:75], v[50:51], s[42:43]
	v_fmac_f64_e32 v[58:59], s[12:13], v[64:65]
	v_add_f64 v[58:59], v[58:59], v[66:67]
	v_fma_f64 v[66:67], v[62:63], s[12:13], -v[74:75]
	v_add_f64 v[66:67], v[66:67], v[68:69]
	v_mul_f64 v[68:69], v[52:53], s[30:31]
	v_fma_f64 v[108:109], s[12:13], v[62:63], v[74:75]
	v_fma_f64 v[74:75], v[64:65], s[28:29], -v[68:69]
	v_add_f64 v[74:75], v[74:75], v[80:81]
	v_mul_f64 v[80:81], v[50:51], s[30:31]
	v_fmac_f64_e32 v[68:69], s[28:29], v[64:65]
	s_mov_b32 s65, 0x3fc7851a
	s_mov_b32 s64, s48
	v_add_f64 v[76:77], v[108:109], v[76:77]
	v_fma_f64 v[108:109], s[28:29], v[62:63], v[80:81]
	v_add_f64 v[68:69], v[68:69], v[78:79]
	v_fma_f64 v[78:79], v[62:63], s[28:29], -v[80:81]
	v_mul_f64 v[80:81], v[52:53], s[64:65]
	v_add_f64 v[78:79], v[78:79], v[82:83]
	v_fma_f64 v[82:83], v[64:65], s[46:47], -v[80:81]
	v_add_f64 v[82:83], v[82:83], v[90:91]
	v_mul_f64 v[90:91], v[50:51], s[64:65]
	v_fmac_f64_e32 v[80:81], s[46:47], v[64:65]
	v_add_f64 v[80:81], v[80:81], v[86:87]
	v_fma_f64 v[86:87], v[62:63], s[46:47], -v[90:91]
	v_add_f64 v[86:87], v[86:87], v[88:89]
	v_mul_f64 v[88:89], v[52:53], s[56:57]
	v_add_f64 v[84:85], v[108:109], v[84:85]
	v_fma_f64 v[108:109], s[46:47], v[62:63], v[90:91]
	v_fma_f64 v[90:91], v[64:65], s[22:23], -v[88:89]
	v_add_f64 v[90:91], v[90:91], v[96:97]
	v_mul_f64 v[96:97], v[50:51], s[56:57]
	v_fmac_f64_e32 v[88:89], s[22:23], v[64:65]
	v_add_f64 v[88:89], v[88:89], v[92:93]
	v_fma_f64 v[92:93], v[62:63], s[22:23], -v[96:97]
	s_mov_b32 s55, 0x3fe58eea
	s_mov_b32 s54, s40
	v_add_f64 v[92:93], v[92:93], v[94:95]
	v_mul_f64 v[94:95], v[52:53], s[54:55]
	v_add_f64 v[102:103], v[108:109], v[102:103]
	v_fma_f64 v[108:109], s[22:23], v[62:63], v[96:97]
	v_fma_f64 v[96:97], v[64:65], s[20:21], -v[94:95]
	v_add_f64 v[96:97], v[96:97], v[100:101]
	v_mul_f64 v[100:101], v[50:51], s[54:55]
	v_fmac_f64_e32 v[94:95], s[20:21], v[64:65]
	v_fma_f64 v[110:111], s[20:21], v[62:63], v[100:101]
	v_add_f64 v[94:95], v[94:95], v[98:99]
	v_fma_f64 v[98:99], v[62:63], s[20:21], -v[100:101]
	v_mul_f64 v[100:101], v[52:53], s[34:35]
	v_add_f64 v[98:99], v[98:99], v[114:115]
	v_fma_f64 v[114:115], v[64:65], s[24:25], -v[100:101]
	v_add_f64 v[106:107], v[114:115], v[106:107]
	v_mul_f64 v[114:115], v[50:51], s[34:35]
	v_fmac_f64_e32 v[100:101], s[24:25], v[64:65]
	v_add_f64 v[108:109], v[108:109], v[116:117]
	v_fma_f64 v[116:117], s[24:25], v[62:63], v[114:115]
	v_add_f64 v[100:101], v[100:101], v[104:105]
	v_fma_f64 v[104:105], v[62:63], s[24:25], -v[114:115]
	v_mul_f64 v[114:115], v[52:53], s[38:39]
	v_add_f64 v[104:105], v[104:105], v[118:119]
	v_fma_f64 v[118:119], v[64:65], s[8:9], -v[114:115]
	v_add_f64 v[48:49], v[118:119], v[48:49]
	v_mul_f64 v[118:119], v[50:51], s[38:39]
	v_fmac_f64_e32 v[114:115], s[8:9], v[64:65]
	v_mul_f64 v[52:53], v[52:53], s[36:37]
	v_add_f64 v[110:111], v[110:111], v[120:121]
	v_fma_f64 v[120:121], s[8:9], v[62:63], v[118:119]
	v_add_f64 v[46:47], v[114:115], v[46:47]
	v_fma_f64 v[114:115], v[62:63], s[8:9], -v[118:119]
	v_fma_f64 v[118:119], v[64:65], s[44:45], -v[52:53]
	v_mul_f64 v[50:51], v[50:51], s[36:37]
	v_add_f64 v[112:113], v[118:119], v[112:113]
	v_fma_f64 v[118:119], s[44:45], v[62:63], v[50:51]
	v_fma_f64 v[50:51], v[62:63], s[44:45], -v[50:51]
	v_fmac_f64_e32 v[52:53], s[44:45], v[64:65]
	v_add_f64 v[40:41], v[50:51], v[40:41]
	v_mul_f64 v[50:51], v[44:45], s[38:39]
	v_add_f64 v[38:39], v[52:53], v[38:39]
	v_fma_f64 v[52:53], v[56:57], s[8:9], -v[50:51]
	v_add_f64 v[52:53], v[52:53], v[60:61]
	v_mul_f64 v[60:61], v[42:43], s[38:39]
	v_fmac_f64_e32 v[50:51], s[8:9], v[56:57]
	v_fma_f64 v[62:63], s[8:9], v[54:55], v[60:61]
	v_add_f64 v[50:51], v[50:51], v[58:59]
	v_fma_f64 v[58:59], v[54:55], s[8:9], -v[60:61]
	v_mul_f64 v[60:61], v[44:45], s[48:49]
	v_add_f64 v[58:59], v[58:59], v[66:67]
	v_fma_f64 v[64:65], v[56:57], s[46:47], -v[60:61]
	v_mul_f64 v[66:67], v[42:43], s[48:49]
	v_fmac_f64_e32 v[60:61], s[46:47], v[56:57]
	v_add_f64 v[64:65], v[64:65], v[74:75]
	v_fma_f64 v[74:75], s[46:47], v[54:55], v[66:67]
	v_add_f64 v[60:61], v[60:61], v[68:69]
	v_fma_f64 v[66:67], v[54:55], s[46:47], -v[66:67]
	v_mul_f64 v[68:69], v[44:45], s[56:57]
	v_add_f64 v[62:63], v[62:63], v[76:77]
	v_add_f64 v[66:67], v[66:67], v[78:79]
	v_fma_f64 v[76:77], v[56:57], s[22:23], -v[68:69]
	v_mul_f64 v[78:79], v[42:43], s[56:57]
	v_fmac_f64_e32 v[68:69], s[22:23], v[56:57]
	v_add_f64 v[76:77], v[76:77], v[82:83]
	v_fma_f64 v[82:83], s[22:23], v[54:55], v[78:79]
	v_add_f64 v[68:69], v[68:69], v[80:81]
	v_fma_f64 v[78:79], v[54:55], s[22:23], -v[78:79]
	v_mul_f64 v[80:81], v[44:45], s[52:53]
	v_add_f64 v[74:75], v[74:75], v[84:85]
	;; [unrolled: 10-line block ×3, first 2 shown]
	v_fma_f64 v[92:93], v[56:57], s[12:13], -v[88:89]
	v_add_f64 v[92:93], v[92:93], v[96:97]
	v_mul_f64 v[96:97], v[42:43], s[42:43]
	v_fmac_f64_e32 v[88:89], s[12:13], v[56:57]
	v_add_f64 v[82:83], v[82:83], v[102:103]
	v_fma_f64 v[102:103], s[12:13], v[54:55], v[96:97]
	v_add_f64 v[88:89], v[88:89], v[94:95]
	v_fma_f64 v[94:95], v[54:55], s[12:13], -v[96:97]
	v_mul_f64 v[96:97], v[44:45], s[36:37]
	v_add_f64 v[94:95], v[94:95], v[98:99]
	v_fma_f64 v[98:99], v[56:57], s[44:45], -v[96:97]
	v_add_f64 v[98:99], v[98:99], v[106:107]
	v_mul_f64 v[106:107], v[42:43], s[36:37]
	v_fmac_f64_e32 v[96:97], s[44:45], v[56:57]
	v_add_f64 v[96:97], v[96:97], v[100:101]
	v_fma_f64 v[100:101], v[54:55], s[44:45], -v[106:107]
	s_mov_b32 s61, 0x3fe9895b
	s_mov_b32 s60, s30
	v_add_f64 v[100:101], v[100:101], v[104:105]
	v_mul_f64 v[104:105], v[44:45], s[60:61]
	v_add_f64 v[90:91], v[90:91], v[108:109]
	v_fma_f64 v[108:109], s[44:45], v[54:55], v[106:107]
	v_fma_f64 v[106:107], v[56:57], s[28:29], -v[104:105]
	v_add_f64 v[48:49], v[106:107], v[48:49]
	v_mul_f64 v[106:107], v[42:43], s[60:61]
	v_fmac_f64_e32 v[104:105], s[28:29], v[56:57]
	v_mul_f64 v[44:45], v[44:45], s[54:55]
	v_add_f64 v[102:103], v[102:103], v[110:111]
	v_fma_f64 v[110:111], s[28:29], v[54:55], v[106:107]
	v_add_f64 v[46:47], v[104:105], v[46:47]
	v_fma_f64 v[104:105], v[54:55], s[28:29], -v[106:107]
	v_fma_f64 v[106:107], v[56:57], s[20:21], -v[44:45]
	v_mul_f64 v[42:43], v[42:43], s[54:55]
	v_fmac_f64_e32 v[44:45], s[20:21], v[56:57]
	v_add_f64 v[106:107], v[106:107], v[112:113]
	v_fma_f64 v[112:113], s[20:21], v[54:55], v[42:43]
	v_add_f64 v[38:39], v[44:45], v[38:39]
	v_fma_f64 v[42:43], v[54:55], s[20:21], -v[42:43]
	v_add_f64 v[44:45], v[32:33], v[36:37]
	v_add_f64 v[32:33], v[32:33], -v[36:37]
	v_add_f64 v[40:41], v[42:43], v[40:41]
	v_add_f64 v[42:43], v[30:31], v[34:35]
	v_add_f64 v[30:31], v[30:31], -v[34:35]
	v_mul_f64 v[34:35], v[32:33], s[26:27]
	v_fma_f64 v[36:37], v[42:43], s[22:23], -v[34:35]
	v_add_f64 v[36:37], v[36:37], v[52:53]
	v_mul_f64 v[52:53], v[30:31], s[26:27]
	v_fmac_f64_e32 v[34:35], s[22:23], v[42:43]
	v_fma_f64 v[54:55], s[22:23], v[44:45], v[52:53]
	v_add_f64 v[34:35], v[34:35], v[50:51]
	v_fma_f64 v[50:51], v[44:45], s[22:23], -v[52:53]
	v_mul_f64 v[52:53], v[32:33], s[58:59]
	v_add_f64 v[50:51], v[50:51], v[58:59]
	v_fma_f64 v[56:57], v[42:43], s[44:45], -v[52:53]
	v_mul_f64 v[58:59], v[30:31], s[58:59]
	v_fmac_f64_e32 v[52:53], s[44:45], v[42:43]
	v_add_f64 v[54:55], v[54:55], v[62:63]
	v_fma_f64 v[62:63], s[44:45], v[44:45], v[58:59]
	v_add_f64 v[52:53], v[52:53], v[60:61]
	v_fma_f64 v[58:59], v[44:45], s[44:45], -v[58:59]
	v_mul_f64 v[60:61], v[32:33], s[54:55]
	v_add_f64 v[56:57], v[56:57], v[64:65]
	v_add_f64 v[58:59], v[58:59], v[66:67]
	v_fma_f64 v[64:65], v[42:43], s[20:21], -v[60:61]
	v_mul_f64 v[66:67], v[30:31], s[54:55]
	v_fmac_f64_e32 v[60:61], s[20:21], v[42:43]
	v_add_f64 v[62:63], v[62:63], v[74:75]
	v_fma_f64 v[74:75], s[20:21], v[44:45], v[66:67]
	v_add_f64 v[60:61], v[60:61], v[68:69]
	v_fma_f64 v[66:67], v[44:45], s[20:21], -v[66:67]
	v_mul_f64 v[68:69], v[32:33], s[42:43]
	v_add_f64 v[64:65], v[64:65], v[76:77]
	;; [unrolled: 10-line block ×3, first 2 shown]
	v_add_f64 v[78:79], v[78:79], v[86:87]
	v_fma_f64 v[84:85], v[42:43], s[46:47], -v[80:81]
	v_mul_f64 v[86:87], v[30:31], s[48:49]
	v_fmac_f64_e32 v[80:81], s[46:47], v[42:43]
	s_mov_b32 s63, 0x3fefdd0d
	s_mov_b32 s62, s38
	v_add_f64 v[82:83], v[82:83], v[90:91]
	v_fma_f64 v[90:91], s[46:47], v[44:45], v[86:87]
	v_add_f64 v[80:81], v[80:81], v[88:89]
	v_fma_f64 v[86:87], v[44:45], s[46:47], -v[86:87]
	v_mul_f64 v[88:89], v[32:33], s[62:63]
	v_add_f64 v[84:85], v[84:85], v[92:93]
	v_add_f64 v[86:87], v[86:87], v[94:95]
	v_fma_f64 v[92:93], v[42:43], s[8:9], -v[88:89]
	v_mul_f64 v[94:95], v[30:31], s[62:63]
	v_fmac_f64_e32 v[88:89], s[8:9], v[42:43]
	v_add_f64 v[92:93], v[92:93], v[98:99]
	v_fma_f64 v[98:99], s[8:9], v[44:45], v[94:95]
	v_add_f64 v[88:89], v[88:89], v[96:97]
	v_fma_f64 v[94:95], v[44:45], s[8:9], -v[94:95]
	v_mul_f64 v[96:97], v[32:33], s[34:35]
	v_add_f64 v[122:123], v[122:123], v[130:131]
	v_add_f64 v[94:95], v[94:95], v[100:101]
	v_fma_f64 v[100:101], v[42:43], s[24:25], -v[96:97]
	v_add_f64 v[114:115], v[114:115], v[122:123]
	v_add_f64 v[48:49], v[100:101], v[48:49]
	v_mul_f64 v[100:101], v[30:31], s[34:35]
	v_fmac_f64_e32 v[96:97], s[24:25], v[42:43]
	v_add_f64 v[104:105], v[104:105], v[114:115]
	v_add_f64 v[46:47], v[96:97], v[46:47]
	v_fma_f64 v[96:97], v[44:45], s[24:25], -v[100:101]
	v_mul_f64 v[30:31], v[30:31], s[30:31]
	v_add_f64 v[96:97], v[96:97], v[104:105]
	v_mul_f64 v[32:33], v[32:33], s[30:31]
	v_fma_f64 v[104:105], s[28:29], v[44:45], v[30:31]
	v_fma_f64 v[30:31], v[44:45], s[28:29], -v[30:31]
	v_add_f64 v[90:91], v[90:91], v[102:103]
	v_fma_f64 v[102:103], s[24:25], v[44:45], v[100:101]
	v_fma_f64 v[100:101], v[42:43], s[28:29], -v[32:33]
	v_fmac_f64_e32 v[32:33], s[28:29], v[42:43]
	v_add_f64 v[30:31], v[30:31], v[40:41]
	v_add_f64 v[40:41], v[24:25], v[28:29]
	v_add_f64 v[24:25], v[24:25], -v[28:29]
	v_add_f64 v[32:33], v[32:33], v[38:39]
	v_add_f64 v[38:39], v[22:23], v[26:27]
	v_add_f64 v[22:23], v[22:23], -v[26:27]
	v_mul_f64 v[26:27], v[24:25], s[30:31]
	v_fma_f64 v[28:29], v[38:39], s[28:29], -v[26:27]
	v_add_f64 v[28:29], v[28:29], v[36:37]
	v_mul_f64 v[36:37], v[22:23], s[30:31]
	v_fmac_f64_e32 v[26:27], s[28:29], v[38:39]
	v_fma_f64 v[42:43], s[28:29], v[40:41], v[36:37]
	v_add_f64 v[26:27], v[26:27], v[34:35]
	v_fma_f64 v[34:35], v[40:41], s[28:29], -v[36:37]
	v_mul_f64 v[36:37], v[24:25], s[56:57]
	v_add_f64 v[34:35], v[34:35], v[50:51]
	v_fma_f64 v[44:45], v[38:39], s[22:23], -v[36:37]
	v_mul_f64 v[50:51], v[22:23], s[56:57]
	v_fmac_f64_e32 v[36:37], s[22:23], v[38:39]
	v_add_f64 v[42:43], v[42:43], v[54:55]
	v_fma_f64 v[54:55], s[22:23], v[40:41], v[50:51]
	v_add_f64 v[36:37], v[36:37], v[52:53]
	v_fma_f64 v[50:51], v[40:41], s[22:23], -v[50:51]
	v_mul_f64 v[52:53], v[24:25], s[34:35]
	v_add_f64 v[44:45], v[44:45], v[56:57]
	v_add_f64 v[50:51], v[50:51], v[58:59]
	v_fma_f64 v[56:57], v[38:39], s[24:25], -v[52:53]
	v_mul_f64 v[58:59], v[22:23], s[34:35]
	v_fmac_f64_e32 v[52:53], s[24:25], v[38:39]
	v_add_f64 v[54:55], v[54:55], v[62:63]
	v_fma_f64 v[62:63], s[24:25], v[40:41], v[58:59]
	v_add_f64 v[52:53], v[52:53], v[60:61]
	v_fma_f64 v[58:59], v[40:41], s[24:25], -v[58:59]
	v_mul_f64 v[60:61], v[24:25], s[36:37]
	v_add_f64 v[56:57], v[56:57], v[64:65]
	;; [unrolled: 10-line block ×3, first 2 shown]
	v_add_f64 v[66:67], v[66:67], v[78:79]
	v_fma_f64 v[76:77], v[38:39], s[8:9], -v[68:69]
	v_mul_f64 v[78:79], v[22:23], s[62:63]
	v_fmac_f64_e32 v[68:69], s[8:9], v[38:39]
	v_add_f64 v[74:75], v[74:75], v[82:83]
	v_fma_f64 v[82:83], s[8:9], v[40:41], v[78:79]
	v_add_f64 v[68:69], v[68:69], v[80:81]
	v_mul_f64 v[80:81], v[24:25], s[40:41]
	v_add_f64 v[90:91], v[82:83], v[90:91]
	v_fma_f64 v[82:83], v[38:39], s[20:21], -v[80:81]
	v_add_f64 v[126:127], v[126:127], v[132:133]
	v_add_f64 v[92:93], v[82:83], v[92:93]
	v_mul_f64 v[82:83], v[22:23], s[40:41]
	v_fmac_f64_e32 v[80:81], s[20:21], v[38:39]
	v_add_f64 v[118:119], v[118:119], v[126:127]
	v_add_f64 v[100:101], v[100:101], v[106:107]
	;; [unrolled: 1-line block ×3, first 2 shown]
	v_fma_f64 v[80:81], v[40:41], s[20:21], -v[82:83]
	v_add_f64 v[128:129], v[134:135], v[128:129]
	v_add_f64 v[116:117], v[116:117], v[124:125]
	;; [unrolled: 1-line block ×4, first 2 shown]
	v_mul_f64 v[80:81], v[24:25], s[48:49]
	v_add_f64 v[118:119], v[16:17], -v[20:21]
	v_add_f64 v[120:121], v[120:121], v[128:129]
	v_add_f64 v[108:109], v[108:109], v[116:117]
	;; [unrolled: 1-line block ×4, first 2 shown]
	v_fma_f64 v[84:85], s[20:21], v[40:41], v[82:83]
	v_fma_f64 v[82:83], v[38:39], s[46:47], -v[80:81]
	v_add_f64 v[112:113], v[14:15], v[18:19]
	v_add_f64 v[116:117], v[14:15], -v[18:19]
	v_mul_f64 v[14:15], v[118:119], s[36:37]
	v_add_f64 v[110:111], v[110:111], v[120:121]
	v_add_f64 v[98:99], v[98:99], v[108:109]
	;; [unrolled: 1-line block ×3, first 2 shown]
	v_mul_f64 v[82:83], v[22:23], s[48:49]
	v_add_f64 v[114:115], v[16:17], v[20:21]
	v_fma_f64 v[16:17], v[112:113], s[44:45], -v[14:15]
	v_add_f64 v[102:103], v[102:103], v[110:111]
	v_add_f64 v[98:99], v[84:85], v[98:99]
	v_fma_f64 v[84:85], s[46:47], v[40:41], v[82:83]
	v_add_f64 v[88:89], v[16:17], v[28:29]
	v_mul_f64 v[16:17], v[116:117], s[36:37]
	v_fmac_f64_e32 v[14:15], s[44:45], v[112:113]
	v_add_f64 v[102:103], v[84:85], v[102:103]
	v_fmac_f64_e32 v[80:81], s[46:47], v[38:39]
	v_add_f64 v[84:85], v[14:15], v[26:27]
	v_fma_f64 v[14:15], v[114:115], s[44:45], -v[16:17]
	v_add_f64 v[46:47], v[80:81], v[46:47]
	v_fma_f64 v[80:81], v[40:41], s[46:47], -v[82:83]
	v_mul_f64 v[24:25], v[24:25], s[50:51]
	v_add_f64 v[82:83], v[14:15], v[34:35]
	v_mul_f64 v[14:15], v[118:119], s[50:51]
	v_fma_f64 v[78:79], v[40:41], s[8:9], -v[78:79]
	v_add_f64 v[96:97], v[80:81], v[96:97]
	v_fma_f64 v[80:81], v[38:39], s[12:13], -v[24:25]
	v_mul_f64 v[22:23], v[22:23], s[50:51]
	v_fma_f64 v[18:19], s[44:45], v[114:115], v[16:17]
	v_fma_f64 v[16:17], v[112:113], s[12:13], -v[14:15]
	v_add_f64 v[78:79], v[78:79], v[86:87]
	v_add_f64 v[100:101], v[80:81], v[100:101]
	v_fma_f64 v[80:81], s[12:13], v[40:41], v[22:23]
	v_fma_f64 v[22:23], v[40:41], s[12:13], -v[22:23]
	v_add_f64 v[86:87], v[18:19], v[42:43]
	v_add_f64 v[18:19], v[16:17], v[44:45]
	v_mul_f64 v[16:17], v[116:117], s[50:51]
	v_fmac_f64_e32 v[24:25], s[12:13], v[38:39]
	v_add_f64 v[110:111], v[22:23], v[30:31]
	v_fma_f64 v[20:21], s[12:13], v[114:115], v[16:17]
	v_fma_f64 v[16:17], v[114:115], s[12:13], -v[16:17]
	v_mul_f64 v[22:23], v[118:119], s[38:39]
	v_add_f64 v[108:109], v[24:25], v[32:33]
	v_add_f64 v[16:17], v[16:17], v[50:51]
	v_fma_f64 v[24:25], v[112:113], s[8:9], -v[22:23]
	v_fmac_f64_e32 v[22:23], s[8:9], v[112:113]
	v_mul_f64 v[30:31], v[118:119], s[60:61]
	v_mul_f64 v[50:51], v[118:119], s[48:49]
	v_add_f64 v[22:23], v[22:23], v[52:53]
	v_fma_f64 v[32:33], v[112:113], s[28:29], -v[30:31]
	v_mul_f64 v[38:39], v[118:119], s[34:35]
	v_fma_f64 v[52:53], v[112:113], s[46:47], -v[50:51]
	v_add_f64 v[104:105], v[80:81], v[104:105]
	v_fmac_f64_e32 v[14:15], s[12:13], v[112:113]
	v_add_f64 v[34:35], v[32:33], v[64:65]
	v_mul_f64 v[32:33], v[116:117], s[60:61]
	v_fma_f64 v[40:41], v[112:113], s[24:25], -v[38:39]
	v_add_f64 v[80:81], v[52:53], v[92:93]
	v_mul_f64 v[52:53], v[116:117], s[48:49]
	v_fmac_f64_e32 v[50:51], s[46:47], v[112:113]
	v_add_f64 v[14:15], v[14:15], v[36:37]
	v_fma_f64 v[36:37], s[28:29], v[114:115], v[32:33]
	v_add_f64 v[42:43], v[40:41], v[76:77]
	v_add_f64 v[76:77], v[50:51], v[106:107]
	v_fma_f64 v[50:51], v[114:115], s[46:47], -v[52:53]
	v_add_f64 v[36:37], v[36:37], v[74:75]
	v_add_f64 v[74:75], v[50:51], v[94:95]
	v_mul_f64 v[50:51], v[118:119], s[54:55]
	v_add_f64 v[20:21], v[20:21], v[54:55]
	v_fma_f64 v[54:55], s[46:47], v[114:115], v[52:53]
	v_fma_f64 v[52:53], v[112:113], s[20:21], -v[50:51]
	v_mul_f64 v[40:41], v[116:117], s[34:35]
	v_add_f64 v[64:65], v[52:53], v[48:49]
	v_mul_f64 v[48:49], v[116:117], s[54:55]
	v_fmac_f64_e32 v[50:51], s[20:21], v[112:113]
	v_add_f64 v[26:27], v[24:25], v[56:57]
	v_mul_f64 v[24:25], v[116:117], s[38:39]
	v_fma_f64 v[44:45], s[24:25], v[114:115], v[40:41]
	v_fma_f64 v[40:41], v[114:115], s[24:25], -v[40:41]
	v_add_f64 v[56:57], v[50:51], v[46:47]
	v_fma_f64 v[46:47], v[114:115], s[20:21], -v[48:49]
	v_fma_f64 v[28:29], s[8:9], v[114:115], v[24:25]
	v_fma_f64 v[24:25], v[114:115], s[8:9], -v[24:25]
	v_fmac_f64_e32 v[38:39], s[24:25], v[112:113]
	v_add_f64 v[40:41], v[40:41], v[78:79]
	v_add_f64 v[78:79], v[54:55], v[98:99]
	;; [unrolled: 1-line block ×3, first 2 shown]
	v_mul_f64 v[46:47], v[118:119], s[26:27]
	v_add_f64 v[24:25], v[24:25], v[58:59]
	v_fmac_f64_e32 v[30:31], s[28:29], v[112:113]
	v_fma_f64 v[32:33], v[114:115], s[28:29], -v[32:33]
	v_add_f64 v[38:39], v[38:39], v[68:69]
	v_fma_f64 v[52:53], s[20:21], v[114:115], v[48:49]
	v_fma_f64 v[48:49], v[112:113], s[22:23], -v[46:47]
	v_mul_f64 v[58:59], v[116:117], s[26:27]
	v_add_f64 v[68:69], v[8:9], -v[12:13]
	v_add_f64 v[28:29], v[28:29], v[62:63]
	v_add_f64 v[30:31], v[30:31], v[60:61]
	;; [unrolled: 1-line block ×5, first 2 shown]
	v_fma_f64 v[48:49], s[22:23], v[114:115], v[58:59]
	v_fmac_f64_e32 v[46:47], s[22:23], v[112:113]
	v_add_f64 v[60:61], v[6:7], v[10:11]
	v_add_f64 v[66:67], v[6:7], -v[10:11]
	v_mul_f64 v[6:7], v[68:69], s[48:49]
	v_add_f64 v[50:51], v[48:49], v[104:105]
	v_add_f64 v[48:49], v[46:47], v[108:109]
	v_fma_f64 v[46:47], v[114:115], s[22:23], -v[58:59]
	v_add_f64 v[58:59], v[8:9], v[12:13]
	v_fma_f64 v[8:9], v[60:61], s[46:47], -v[6:7]
	v_add_f64 v[10:11], v[8:9], v[88:89]
	v_mul_f64 v[8:9], v[66:67], s[48:49]
	v_fma_f64 v[12:13], s[46:47], v[58:59], v[8:9]
	v_fma_f64 v[8:9], v[58:59], s[46:47], -v[8:9]
	v_fmac_f64_e32 v[6:7], s[46:47], v[60:61]
	v_add_f64 v[8:9], v[8:9], v[82:83]
	v_mul_f64 v[82:83], v[68:69], s[52:53]
	v_add_f64 v[6:7], v[6:7], v[84:85]
	v_fma_f64 v[84:85], v[60:61], s[24:25], -v[82:83]
	v_add_f64 v[18:19], v[84:85], v[18:19]
	v_mul_f64 v[84:85], v[66:67], s[52:53]
	v_fmac_f64_e32 v[82:83], s[24:25], v[60:61]
	v_add_f64 v[14:15], v[82:83], v[14:15]
	v_fma_f64 v[82:83], v[58:59], s[24:25], -v[84:85]
	v_add_f64 v[16:17], v[82:83], v[16:17]
	v_mul_f64 v[82:83], v[68:69], s[36:37]
	v_add_f64 v[12:13], v[12:13], v[86:87]
	v_fma_f64 v[86:87], s[24:25], v[58:59], v[84:85]
	v_fma_f64 v[84:85], v[60:61], s[44:45], -v[82:83]
	v_add_f64 v[26:27], v[84:85], v[26:27]
	v_mul_f64 v[84:85], v[66:67], s[36:37]
	v_fmac_f64_e32 v[82:83], s[44:45], v[60:61]
	v_add_f64 v[22:23], v[82:83], v[22:23]
	v_fma_f64 v[82:83], v[58:59], s[44:45], -v[84:85]
	v_add_f64 v[24:25], v[82:83], v[24:25]
	v_mul_f64 v[82:83], v[68:69], s[54:55]
	v_add_f64 v[20:21], v[86:87], v[20:21]
	v_fma_f64 v[86:87], s[44:45], v[58:59], v[84:85]
	v_fma_f64 v[84:85], v[60:61], s[20:21], -v[82:83]
	v_add_f64 v[34:35], v[84:85], v[34:35]
	v_mul_f64 v[84:85], v[66:67], s[54:55]
	v_fmac_f64_e32 v[82:83], s[20:21], v[60:61]
	v_add_f64 v[30:31], v[82:83], v[30:31]
	v_fma_f64 v[82:83], v[58:59], s[20:21], -v[84:85]
	v_add_f64 v[32:33], v[82:83], v[32:33]
	v_mul_f64 v[82:83], v[68:69], s[30:31]
	v_add_f64 v[28:29], v[86:87], v[28:29]
	v_fma_f64 v[86:87], s[20:21], v[58:59], v[84:85]
	v_fma_f64 v[84:85], v[60:61], s[28:29], -v[82:83]
	v_add_f64 v[42:43], v[84:85], v[42:43]
	v_mul_f64 v[84:85], v[66:67], s[30:31]
	v_fmac_f64_e32 v[82:83], s[28:29], v[60:61]
	v_add_f64 v[44:45], v[44:45], v[90:91]
	v_add_f64 v[36:37], v[86:87], v[36:37]
	v_fma_f64 v[86:87], s[28:29], v[58:59], v[84:85]
	v_add_f64 v[38:39], v[82:83], v[38:39]
	v_fma_f64 v[82:83], v[58:59], s[28:29], -v[84:85]
	v_mul_f64 v[84:85], v[68:69], s[50:51]
	v_add_f64 v[44:45], v[86:87], v[44:45]
	v_add_f64 v[40:41], v[82:83], v[40:41]
	v_fma_f64 v[82:83], v[60:61], s[12:13], -v[84:85]
	v_mul_f64 v[86:87], v[66:67], s[50:51]
	v_add_f64 v[80:81], v[82:83], v[80:81]
	v_fma_f64 v[82:83], s[12:13], v[58:59], v[86:87]
	v_add_f64 v[82:83], v[82:83], v[78:79]
	v_fma_f64 v[78:79], v[58:59], s[12:13], -v[86:87]
	v_fmac_f64_e32 v[84:85], s[12:13], v[60:61]
	v_add_f64 v[78:79], v[78:79], v[74:75]
	v_mul_f64 v[74:75], v[68:69], s[26:27]
	v_add_f64 v[76:77], v[84:85], v[76:77]
	v_fma_f64 v[84:85], v[60:61], s[22:23], -v[74:75]
	v_add_f64 v[84:85], v[84:85], v[64:65]
	v_mul_f64 v[64:65], v[66:67], s[26:27]
	v_fma_f64 v[86:87], s[22:23], v[58:59], v[64:65]
	v_fmac_f64_e32 v[74:75], s[22:23], v[60:61]
	v_add_f64 v[86:87], v[86:87], v[62:63]
	v_add_f64 v[62:63], v[74:75], v[56:57]
	v_fma_f64 v[56:57], v[58:59], s[22:23], -v[64:65]
	v_add_f64 v[64:65], v[56:57], v[54:55]
	v_mul_f64 v[56:57], v[68:69], s[62:63]
	v_fma_f64 v[54:55], v[60:61], s[8:9], -v[56:57]
	v_mul_f64 v[66:67], v[66:67], s[62:63]
	v_add_f64 v[52:53], v[54:55], v[52:53]
	v_fma_f64 v[54:55], s[8:9], v[58:59], v[66:67]
	s_movk_i32 s3, 0x770
	v_add_f64 v[46:47], v[46:47], v[110:111]
	v_add_f64 v[54:55], v[54:55], v[50:51]
	v_fma_f64 v[50:51], v[58:59], s[8:9], -v[66:67]
	v_add_f64 v[50:51], v[50:51], v[46:47]
	v_mul_u32_u24_sdwa v46, v70, s3 dst_sel:DWORD dst_unused:UNUSED_PAD src0_sel:WORD_1 src1_sel:DWORD
	v_fmac_f64_e32 v[56:57], s[8:9], v[60:61]
	v_add3_u32 v46, 0, v46, v73
	v_add_f64 v[48:49], v[56:57], v[48:49]
	s_barrier
	ds_write_b128 v46, v[2:5]
	ds_write_b128 v46, v[10:13] offset:112
	ds_write_b128 v46, v[18:21] offset:224
	;; [unrolled: 1-line block ×16, first 2 shown]
	v_mov_b32_e32 v2, 31
	v_mul_lo_u16_sdwa v2, v70, v2 dst_sel:DWORD dst_unused:UNUSED_PAD src0_sel:WORD_1 src1_sel:DWORD
	v_lshrrev_b16_e32 v2, 9, v2
	v_mul_lo_u16_e32 v2, 17, v2
	v_sub_u16_sdwa v70, v70, v2 dst_sel:DWORD dst_unused:UNUSED_PAD src0_sel:WORD_1 src1_sel:DWORD
	v_mov_b32_e32 v2, 8
	v_lshlrev_b32_sdwa v18, v2, v70 dst_sel:DWORD dst_unused:UNUSED_PAD src0_sel:DWORD src1_sel:BYTE_0
	s_waitcnt lgkmcnt(0)
	s_barrier
	global_load_dwordx4 v[14:17], v18, s[4:5]
	global_load_dwordx4 v[10:13], v18, s[4:5] offset:16
	global_load_dwordx4 v[6:9], v18, s[4:5] offset:32
	;; [unrolled: 1-line block ×15, first 2 shown]
	ds_read_b128 v[18:21], v1
	ds_read_b128 v[30:33], v1 offset:1904
	ds_read_b128 v[38:41], v1 offset:3808
	;; [unrolled: 1-line block ×11, first 2 shown]
	s_mul_i32 s2, s7, s2
	s_mov_b32 s7, s17
	v_mov_b32_e32 v73, v71
	v_lshl_add_u64 v[72:73], s[6:7], 0, v[72:73]
	s_mul_i32 s14, s18, s66
	s_mov_b32 s3, s17
	v_mul_u32_u24_e32 v0, 0x227, v0
	v_mul_lo_u16_sdwa v0, v0, s33 dst_sel:DWORD dst_unused:UNUSED_PAD src0_sel:WORD_1 src1_sel:DWORD
	v_add_u32_sdwa v0, v70, v0 dst_sel:DWORD dst_unused:UNUSED_PAD src0_sel:BYTE_0 src1_sel:DWORD
	v_mul_lo_u32 v70, v0, s16
	s_mul_i32 s16, s16, 17
	s_waitcnt vmcnt(15) lgkmcnt(10)
	v_mul_f64 v[46:47], v[32:33], v[16:17]
	v_mul_f64 v[128:129], v[30:31], v[16:17]
	v_fma_f64 v[126:127], v[30:31], v[14:15], -v[46:47]
	v_fmac_f64_e32 v[128:129], v[32:33], v[14:15]
	s_waitcnt vmcnt(14) lgkmcnt(9)
	v_mul_f64 v[14:15], v[40:41], v[12:13]
	v_mul_f64 v[58:59], v[38:39], v[12:13]
	v_fma_f64 v[60:61], v[38:39], v[10:11], -v[14:15]
	v_fmac_f64_e32 v[58:59], v[40:41], v[10:11]
	;; [unrolled: 5-line block ×4, first 2 shown]
	s_waitcnt vmcnt(11) lgkmcnt(6)
	v_mul_f64 v[2:3], v[100:101], v[24:25]
	v_fma_f64 v[30:31], v[98:99], v[22:23], -v[2:3]
	v_mul_f64 v[32:33], v[98:99], v[24:25]
	s_waitcnt vmcnt(10) lgkmcnt(5)
	v_mul_f64 v[2:3], v[104:105], v[28:29]
	v_mul_f64 v[24:25], v[102:103], v[28:29]
	ds_read_b128 v[90:93], v1 offset:22848
	ds_read_b128 v[94:97], v1 offset:24752
	v_fmac_f64_e32 v[32:33], v[100:101], v[22:23]
	v_fma_f64 v[22:23], v[102:103], v[26:27], -v[2:3]
	v_fmac_f64_e32 v[24:25], v[104:105], v[26:27]
	ds_read_b128 v[98:101], v1 offset:26656
	ds_read_b128 v[102:105], v1 offset:28560
	s_waitcnt vmcnt(9) lgkmcnt(8)
	v_mul_f64 v[2:3], v[108:109], v[36:37]
	v_mul_f64 v[12:13], v[106:107], v[36:37]
	v_fma_f64 v[10:11], v[106:107], v[34:35], -v[2:3]
	v_fmac_f64_e32 v[12:13], v[108:109], v[34:35]
	ds_read_b128 v[106:109], v1 offset:30464
	s_waitcnt vmcnt(6) lgkmcnt(6)
	v_mul_f64 v[14:15], v[120:121], v[56:57]
	v_mul_f64 v[16:17], v[118:119], v[56:57]
	v_fma_f64 v[14:15], v[118:119], v[54:55], -v[14:15]
	v_fmac_f64_e32 v[16:17], v[120:121], v[54:55]
	s_waitcnt vmcnt(5) lgkmcnt(5)
	v_mul_f64 v[26:27], v[124:125], v[64:65]
	v_mul_f64 v[28:29], v[122:123], v[64:65]
	s_waitcnt vmcnt(1) lgkmcnt(1)
	v_mul_f64 v[54:55], v[104:105], v[84:85]
	v_fma_f64 v[26:27], v[122:123], v[62:63], -v[26:27]
	v_fmac_f64_e32 v[28:29], v[124:125], v[62:63]
	v_mul_f64 v[34:35], v[92:93], v[68:69]
	v_mul_f64 v[36:37], v[90:91], v[68:69]
	v_fma_f64 v[62:63], v[102:103], v[82:83], -v[54:55]
	s_waitcnt vmcnt(0) lgkmcnt(0)
	v_mul_f64 v[54:55], v[108:109], v[88:89]
	v_add_f64 v[56:57], v[20:21], v[128:129]
	v_fma_f64 v[34:35], v[90:91], v[66:67], -v[34:35]
	v_fmac_f64_e32 v[36:37], v[92:93], v[66:67]
	v_fma_f64 v[66:67], v[106:107], v[86:87], -v[54:55]
	v_add_f64 v[54:55], v[18:19], v[126:127]
	v_add_f64 v[56:57], v[56:57], v[58:59]
	v_add_f64 v[54:55], v[54:55], v[60:61]
	v_add_f64 v[56:57], v[56:57], v[46:47]
	v_add_f64 v[54:55], v[54:55], v[48:49]
	v_add_f64 v[56:57], v[56:57], v[38:39]
	v_add_f64 v[54:55], v[54:55], v[40:41]
	v_add_f64 v[56:57], v[56:57], v[32:33]
	v_mul_f64 v[4:5], v[110:111], v[44:45]
	v_add_f64 v[54:55], v[54:55], v[30:31]
	v_add_f64 v[56:57], v[56:57], v[24:25]
	v_mul_f64 v[2:3], v[112:113], v[44:45]
	v_fmac_f64_e32 v[4:5], v[112:113], v[42:43]
	v_mul_f64 v[8:9], v[114:115], v[52:53]
	v_add_f64 v[54:55], v[54:55], v[22:23]
	v_add_f64 v[56:57], v[56:57], v[12:13]
	v_fma_f64 v[2:3], v[110:111], v[42:43], -v[2:3]
	v_mul_f64 v[6:7], v[116:117], v[52:53]
	v_fmac_f64_e32 v[8:9], v[116:117], v[50:51]
	v_add_f64 v[54:55], v[54:55], v[10:11]
	v_add_f64 v[56:57], v[56:57], v[4:5]
	v_fma_f64 v[6:7], v[114:115], v[50:51], -v[6:7]
	v_add_f64 v[54:55], v[54:55], v[2:3]
	v_add_f64 v[56:57], v[56:57], v[8:9]
	v_mul_f64 v[42:43], v[96:97], v[76:77]
	v_add_f64 v[54:55], v[54:55], v[6:7]
	v_add_f64 v[56:57], v[56:57], v[16:17]
	v_fma_f64 v[44:45], v[94:95], v[74:75], -v[42:43]
	v_mul_f64 v[42:43], v[94:95], v[76:77]
	v_mul_f64 v[50:51], v[100:101], v[80:81]
	v_add_f64 v[54:55], v[54:55], v[14:15]
	v_add_f64 v[56:57], v[56:57], v[28:29]
	v_fmac_f64_e32 v[42:43], v[96:97], v[74:75]
	v_fma_f64 v[52:53], v[98:99], v[78:79], -v[50:51]
	v_mul_f64 v[50:51], v[98:99], v[80:81]
	v_add_f64 v[54:55], v[54:55], v[26:27]
	v_add_f64 v[56:57], v[56:57], v[36:37]
	v_fmac_f64_e32 v[50:51], v[100:101], v[78:79]
	v_mul_f64 v[64:65], v[102:103], v[84:85]
	v_add_f64 v[54:55], v[54:55], v[34:35]
	v_add_f64 v[56:57], v[56:57], v[42:43]
	v_fmac_f64_e32 v[64:65], v[104:105], v[82:83]
	v_mul_f64 v[68:69], v[106:107], v[88:89]
	v_add_f64 v[54:55], v[54:55], v[44:45]
	v_add_f64 v[56:57], v[56:57], v[50:51]
	v_fmac_f64_e32 v[68:69], v[108:109], v[86:87]
	v_add_f64 v[54:55], v[54:55], v[52:53]
	v_add_f64 v[56:57], v[56:57], v[64:65]
	;; [unrolled: 1-line block ×5, first 2 shown]
	v_add_f64 v[68:69], v[128:129], -v[68:69]
	v_add_f64 v[54:55], v[54:55], v[66:67]
	v_add_f64 v[74:75], v[126:127], v[66:67]
	v_add_f64 v[66:67], v[126:127], -v[66:67]
	v_mul_f64 v[78:79], v[68:69], s[34:35]
	v_mul_f64 v[86:87], v[68:69], s[40:41]
	;; [unrolled: 1-line block ×8, first 2 shown]
	v_fma_f64 v[80:81], v[74:75], s[24:25], -v[78:79]
	v_mul_f64 v[82:83], v[66:67], s[34:35]
	v_fmac_f64_e32 v[78:79], s[24:25], v[74:75]
	v_fma_f64 v[88:89], v[74:75], s[20:21], -v[86:87]
	v_mul_f64 v[90:91], v[66:67], s[40:41]
	v_fmac_f64_e32 v[86:87], s[20:21], v[74:75]
	v_fma_f64 v[96:97], v[74:75], s[12:13], -v[94:95]
	v_fmac_f64_e32 v[94:95], s[12:13], v[74:75]
	v_fma_f64 v[100:101], v[74:75], s[8:9], -v[98:99]
	;; [unrolled: 2-line block ×6, first 2 shown]
	v_fmac_f64_e32 v[68:69], s[46:47], v[74:75]
	v_mul_f64 v[74:75], v[66:67], s[42:43]
	v_mul_f64 v[118:119], v[66:67], s[38:39]
	;; [unrolled: 1-line block ×6, first 2 shown]
	v_fma_f64 v[84:85], s[24:25], v[76:77], v[82:83]
	v_fma_f64 v[82:83], v[76:77], s[24:25], -v[82:83]
	v_fma_f64 v[92:93], s[20:21], v[76:77], v[90:91]
	v_fma_f64 v[90:91], v[76:77], s[20:21], -v[90:91]
	;; [unrolled: 2-line block ×8, first 2 shown]
	v_add_f64 v[76:77], v[18:19], v[80:81]
	v_add_f64 v[80:81], v[20:21], v[84:85]
	;; [unrolled: 1-line block ×20, first 2 shown]
	v_add_f64 v[60:61], v[60:61], -v[62:63]
	v_add_f64 v[62:63], v[58:59], v[64:65]
	v_add_f64 v[58:59], v[58:59], -v[64:65]
	v_mul_f64 v[64:65], v[58:59], s[40:41]
	v_add_f64 v[78:79], v[18:19], v[78:79]
	v_add_f64 v[86:87], v[18:19], v[86:87]
	;; [unrolled: 1-line block ×13, first 2 shown]
	v_fma_f64 v[68:69], v[66:67], s[20:21], -v[64:65]
	v_add_f64 v[68:69], v[68:69], v[76:77]
	v_mul_f64 v[76:77], v[60:61], s[40:41]
	v_fmac_f64_e32 v[64:65], s[20:21], v[66:67]
	v_fma_f64 v[134:135], s[20:21], v[62:63], v[76:77]
	v_add_f64 v[64:65], v[64:65], v[78:79]
	v_fma_f64 v[76:77], v[62:63], s[20:21], -v[76:77]
	v_mul_f64 v[78:79], v[58:59], s[38:39]
	v_add_f64 v[76:77], v[76:77], v[82:83]
	v_fma_f64 v[82:83], v[66:67], s[8:9], -v[78:79]
	v_add_f64 v[82:83], v[82:83], v[84:85]
	v_mul_f64 v[84:85], v[60:61], s[38:39]
	v_fmac_f64_e32 v[78:79], s[8:9], v[66:67]
	v_add_f64 v[80:81], v[134:135], v[80:81]
	v_fma_f64 v[134:135], s[8:9], v[62:63], v[84:85]
	v_add_f64 v[78:79], v[78:79], v[86:87]
	v_fma_f64 v[84:85], v[62:63], s[8:9], -v[84:85]
	v_mul_f64 v[86:87], v[58:59], s[30:31]
	v_add_f64 v[84:85], v[84:85], v[90:91]
	v_fma_f64 v[90:91], v[66:67], s[28:29], -v[86:87]
	v_add_f64 v[90:91], v[90:91], v[92:93]
	v_mul_f64 v[92:93], v[60:61], s[30:31]
	v_add_f64 v[88:89], v[134:135], v[88:89]
	v_fma_f64 v[134:135], s[28:29], v[62:63], v[92:93]
	v_fma_f64 v[92:93], v[62:63], s[28:29], -v[92:93]
	v_fmac_f64_e32 v[86:87], s[28:29], v[66:67]
	v_add_f64 v[74:75], v[92:93], v[74:75]
	v_mul_f64 v[92:93], v[58:59], s[48:49]
	v_add_f64 v[86:87], v[86:87], v[94:95]
	v_fma_f64 v[94:95], v[66:67], s[46:47], -v[92:93]
	v_add_f64 v[94:95], v[94:95], v[100:101]
	v_mul_f64 v[100:101], v[60:61], s[48:49]
	v_fmac_f64_e32 v[92:93], s[46:47], v[66:67]
	v_add_f64 v[96:97], v[134:135], v[96:97]
	v_fma_f64 v[134:135], s[46:47], v[62:63], v[100:101]
	v_add_f64 v[92:93], v[92:93], v[98:99]
	v_fma_f64 v[98:99], v[62:63], s[46:47], -v[100:101]
	v_mul_f64 v[100:101], v[58:59], s[58:59]
	v_add_f64 v[98:99], v[98:99], v[118:119]
	v_fma_f64 v[118:119], v[66:67], s[44:45], -v[100:101]
	v_add_f64 v[104:105], v[118:119], v[104:105]
	v_mul_f64 v[118:119], v[60:61], s[58:59]
	v_fmac_f64_e32 v[100:101], s[44:45], v[66:67]
	v_add_f64 v[116:117], v[134:135], v[116:117]
	v_fma_f64 v[134:135], s[44:45], v[62:63], v[118:119]
	v_add_f64 v[100:101], v[100:101], v[102:103]
	v_fma_f64 v[102:103], v[62:63], s[44:45], -v[118:119]
	v_mul_f64 v[118:119], v[58:59], s[56:57]
	v_add_f64 v[102:103], v[102:103], v[122:123]
	v_fma_f64 v[122:123], v[66:67], s[22:23], -v[118:119]
	v_add_f64 v[108:109], v[122:123], v[108:109]
	v_mul_f64 v[122:123], v[60:61], s[56:57]
	v_fmac_f64_e32 v[118:119], s[22:23], v[66:67]
	v_add_f64 v[120:121], v[134:135], v[120:121]
	v_fma_f64 v[134:135], s[22:23], v[62:63], v[122:123]
	v_add_f64 v[106:107], v[118:119], v[106:107]
	v_fma_f64 v[118:119], v[62:63], s[22:23], -v[122:123]
	v_mul_f64 v[122:123], v[58:59], s[50:51]
	v_add_f64 v[118:119], v[118:119], v[126:127]
	v_fma_f64 v[126:127], v[66:67], s[12:13], -v[122:123]
	v_add_f64 v[112:113], v[126:127], v[112:113]
	v_mul_f64 v[126:127], v[60:61], s[50:51]
	v_fmac_f64_e32 v[122:123], s[12:13], v[66:67]
	v_mul_f64 v[58:59], v[58:59], s[52:53]
	v_add_f64 v[124:125], v[134:135], v[124:125]
	v_fma_f64 v[134:135], s[12:13], v[62:63], v[126:127]
	v_add_f64 v[110:111], v[122:123], v[110:111]
	v_fma_f64 v[122:123], v[62:63], s[12:13], -v[126:127]
	v_fma_f64 v[126:127], v[66:67], s[24:25], -v[58:59]
	v_mul_f64 v[60:61], v[60:61], s[52:53]
	v_fmac_f64_e32 v[58:59], s[24:25], v[66:67]
	v_add_f64 v[18:19], v[58:59], v[18:19]
	v_fma_f64 v[58:59], v[62:63], s[24:25], -v[60:61]
	v_add_f64 v[20:21], v[58:59], v[20:21]
	v_add_f64 v[58:59], v[48:49], v[52:53]
	v_add_f64 v[48:49], v[48:49], -v[52:53]
	v_add_f64 v[114:115], v[126:127], v[114:115]
	v_fma_f64 v[126:127], s[24:25], v[62:63], v[60:61]
	v_add_f64 v[52:53], v[46:47], v[50:51]
	v_add_f64 v[46:47], v[46:47], -v[50:51]
	v_mul_f64 v[62:63], v[48:49], s[42:43]
	v_mul_f64 v[50:51], v[46:47], s[42:43]
	v_fma_f64 v[66:67], s[12:13], v[52:53], v[62:63]
	v_fma_f64 v[62:63], v[52:53], s[12:13], -v[62:63]
	v_fma_f64 v[60:61], v[58:59], s[12:13], -v[50:51]
	v_fmac_f64_e32 v[50:51], s[12:13], v[58:59]
	v_add_f64 v[62:63], v[62:63], v[76:77]
	v_mul_f64 v[76:77], v[48:49], s[30:31]
	v_add_f64 v[66:67], v[66:67], v[80:81]
	v_add_f64 v[50:51], v[50:51], v[64:65]
	v_mul_f64 v[64:65], v[46:47], s[30:31]
	v_fma_f64 v[80:81], s[28:29], v[52:53], v[76:77]
	v_fma_f64 v[76:77], v[52:53], s[28:29], -v[76:77]
	v_add_f64 v[60:61], v[60:61], v[68:69]
	v_fma_f64 v[68:69], v[58:59], s[28:29], -v[64:65]
	v_fmac_f64_e32 v[64:65], s[28:29], v[58:59]
	v_add_f64 v[76:77], v[76:77], v[84:85]
	v_mul_f64 v[84:85], v[48:49], s[64:65]
	v_add_f64 v[80:81], v[80:81], v[88:89]
	v_add_f64 v[64:65], v[64:65], v[78:79]
	v_mul_f64 v[78:79], v[46:47], s[64:65]
	v_fma_f64 v[88:89], s[46:47], v[52:53], v[84:85]
	v_fma_f64 v[84:85], v[52:53], s[46:47], -v[84:85]
	v_add_f64 v[68:69], v[68:69], v[82:83]
	v_fma_f64 v[82:83], v[58:59], s[46:47], -v[78:79]
	v_fmac_f64_e32 v[78:79], s[46:47], v[58:59]
	v_add_f64 v[74:75], v[84:85], v[74:75]
	v_mul_f64 v[84:85], v[46:47], s[56:57]
	v_add_f64 v[82:83], v[82:83], v[90:91]
	v_add_f64 v[78:79], v[78:79], v[86:87]
	v_fma_f64 v[86:87], v[58:59], s[22:23], -v[84:85]
	v_mul_f64 v[90:91], v[48:49], s[56:57]
	v_fmac_f64_e32 v[84:85], s[22:23], v[58:59]
	v_add_f64 v[86:87], v[86:87], v[94:95]
	v_fma_f64 v[94:95], s[22:23], v[52:53], v[90:91]
	v_add_f64 v[84:85], v[84:85], v[92:93]
	v_fma_f64 v[90:91], v[52:53], s[22:23], -v[90:91]
	v_mul_f64 v[92:93], v[46:47], s[54:55]
	v_add_f64 v[88:89], v[88:89], v[96:97]
	v_add_f64 v[90:91], v[90:91], v[98:99]
	v_fma_f64 v[96:97], v[58:59], s[20:21], -v[92:93]
	v_mul_f64 v[98:99], v[48:49], s[54:55]
	v_fmac_f64_e32 v[92:93], s[20:21], v[58:59]
	v_add_f64 v[96:97], v[96:97], v[104:105]
	v_fma_f64 v[104:105], s[20:21], v[52:53], v[98:99]
	v_add_f64 v[92:93], v[92:93], v[100:101]
	v_fma_f64 v[98:99], v[52:53], s[20:21], -v[98:99]
	v_mul_f64 v[100:101], v[46:47], s[34:35]
	v_add_f64 v[98:99], v[98:99], v[102:103]
	v_fma_f64 v[102:103], v[58:59], s[24:25], -v[100:101]
	v_add_f64 v[102:103], v[102:103], v[108:109]
	v_mul_f64 v[108:109], v[48:49], s[34:35]
	v_fmac_f64_e32 v[100:101], s[24:25], v[58:59]
	v_add_f64 v[94:95], v[94:95], v[116:117]
	v_fma_f64 v[116:117], s[24:25], v[52:53], v[108:109]
	v_add_f64 v[100:101], v[100:101], v[106:107]
	v_fma_f64 v[106:107], v[52:53], s[24:25], -v[108:109]
	v_mul_f64 v[108:109], v[46:47], s[38:39]
	v_add_f64 v[106:107], v[106:107], v[118:119]
	v_fma_f64 v[118:119], v[58:59], s[8:9], -v[108:109]
	v_add_f64 v[112:113], v[118:119], v[112:113]
	v_mul_f64 v[118:119], v[48:49], s[38:39]
	v_fmac_f64_e32 v[108:109], s[8:9], v[58:59]
	v_mul_f64 v[46:47], v[46:47], s[36:37]
	v_add_f64 v[104:105], v[104:105], v[120:121]
	v_fma_f64 v[120:121], s[8:9], v[52:53], v[118:119]
	v_add_f64 v[108:109], v[108:109], v[110:111]
	v_fma_f64 v[110:111], v[52:53], s[8:9], -v[118:119]
	v_fma_f64 v[118:119], v[58:59], s[44:45], -v[46:47]
	v_mul_f64 v[48:49], v[48:49], s[36:37]
	v_fmac_f64_e32 v[46:47], s[44:45], v[58:59]
	v_add_f64 v[18:19], v[46:47], v[18:19]
	v_fma_f64 v[46:47], v[52:53], s[44:45], -v[48:49]
	v_add_f64 v[20:21], v[46:47], v[20:21]
	v_add_f64 v[46:47], v[40:41], v[44:45]
	v_add_f64 v[40:41], v[40:41], -v[44:45]
	v_add_f64 v[44:45], v[38:39], v[42:43]
	v_add_f64 v[38:39], v[38:39], -v[42:43]
	v_mul_f64 v[42:43], v[38:39], s[38:39]
	v_add_f64 v[114:115], v[118:119], v[114:115]
	v_fma_f64 v[118:119], s[44:45], v[52:53], v[48:49]
	v_fma_f64 v[48:49], v[46:47], s[8:9], -v[42:43]
	v_mul_f64 v[52:53], v[40:41], s[38:39]
	v_fmac_f64_e32 v[42:43], s[8:9], v[46:47]
	v_add_f64 v[42:43], v[42:43], v[50:51]
	v_fma_f64 v[50:51], v[44:45], s[8:9], -v[52:53]
	v_fma_f64 v[58:59], s[8:9], v[44:45], v[52:53]
	v_add_f64 v[50:51], v[50:51], v[62:63]
	v_mul_f64 v[62:63], v[40:41], s[48:49]
	v_add_f64 v[58:59], v[58:59], v[66:67]
	v_mul_f64 v[52:53], v[38:39], s[48:49]
	v_fma_f64 v[66:67], s[46:47], v[44:45], v[62:63]
	v_fma_f64 v[62:63], v[44:45], s[46:47], -v[62:63]
	v_add_f64 v[48:49], v[48:49], v[60:61]
	v_fma_f64 v[60:61], v[46:47], s[46:47], -v[52:53]
	v_fmac_f64_e32 v[52:53], s[46:47], v[46:47]
	v_add_f64 v[62:63], v[62:63], v[76:77]
	v_mul_f64 v[76:77], v[40:41], s[56:57]
	v_add_f64 v[66:67], v[66:67], v[80:81]
	v_add_f64 v[52:53], v[52:53], v[64:65]
	v_mul_f64 v[64:65], v[38:39], s[56:57]
	v_fma_f64 v[80:81], s[22:23], v[44:45], v[76:77]
	v_fma_f64 v[76:77], v[44:45], s[22:23], -v[76:77]
	v_add_f64 v[60:61], v[60:61], v[68:69]
	v_fma_f64 v[68:69], v[46:47], s[22:23], -v[64:65]
	v_fmac_f64_e32 v[64:65], s[22:23], v[46:47]
	v_add_f64 v[74:75], v[76:77], v[74:75]
	v_mul_f64 v[76:77], v[38:39], s[52:53]
	v_add_f64 v[68:69], v[68:69], v[82:83]
	v_add_f64 v[64:65], v[64:65], v[78:79]
	v_fma_f64 v[78:79], v[46:47], s[24:25], -v[76:77]
	v_mul_f64 v[82:83], v[40:41], s[52:53]
	v_fmac_f64_e32 v[76:77], s[24:25], v[46:47]
	v_add_f64 v[78:79], v[78:79], v[86:87]
	v_fma_f64 v[86:87], s[24:25], v[44:45], v[82:83]
	v_add_f64 v[76:77], v[76:77], v[84:85]
	v_fma_f64 v[82:83], v[44:45], s[24:25], -v[82:83]
	v_mul_f64 v[84:85], v[38:39], s[42:43]
	v_add_f64 v[80:81], v[80:81], v[88:89]
	v_add_f64 v[82:83], v[82:83], v[90:91]
	v_fma_f64 v[88:89], v[46:47], s[12:13], -v[84:85]
	v_mul_f64 v[90:91], v[40:41], s[42:43]
	v_fmac_f64_e32 v[84:85], s[12:13], v[46:47]
	v_add_f64 v[86:87], v[86:87], v[94:95]
	v_fma_f64 v[94:95], s[12:13], v[44:45], v[90:91]
	v_add_f64 v[84:85], v[84:85], v[92:93]
	v_fma_f64 v[90:91], v[44:45], s[12:13], -v[90:91]
	;; [unrolled: 10-line block ×3, first 2 shown]
	v_mul_f64 v[100:101], v[38:39], s[60:61]
	v_add_f64 v[122:123], v[122:123], v[130:131]
	v_add_f64 v[94:95], v[94:95], v[104:105]
	;; [unrolled: 1-line block ×3, first 2 shown]
	v_fma_f64 v[104:105], v[46:47], s[28:29], -v[100:101]
	v_mul_f64 v[106:107], v[40:41], s[60:61]
	v_fmac_f64_e32 v[100:101], s[28:29], v[46:47]
	v_mul_f64 v[38:39], v[38:39], s[54:55]
	v_add_f64 v[110:111], v[110:111], v[122:123]
	v_add_f64 v[104:105], v[104:105], v[112:113]
	v_fma_f64 v[112:113], s[28:29], v[44:45], v[106:107]
	v_add_f64 v[100:101], v[100:101], v[108:109]
	v_fma_f64 v[106:107], v[44:45], s[28:29], -v[106:107]
	v_fma_f64 v[108:109], v[46:47], s[20:21], -v[38:39]
	v_mul_f64 v[40:41], v[40:41], s[54:55]
	v_fmac_f64_e32 v[38:39], s[20:21], v[46:47]
	v_add_f64 v[106:107], v[106:107], v[110:111]
	v_fma_f64 v[110:111], s[20:21], v[44:45], v[40:41]
	v_add_f64 v[18:19], v[38:39], v[18:19]
	v_fma_f64 v[38:39], v[44:45], s[20:21], -v[40:41]
	v_add_f64 v[40:41], v[32:33], v[36:37]
	v_add_f64 v[32:33], v[32:33], -v[36:37]
	v_add_f64 v[20:21], v[38:39], v[20:21]
	v_add_f64 v[38:39], v[30:31], v[34:35]
	v_add_f64 v[30:31], v[30:31], -v[34:35]
	v_mul_f64 v[34:35], v[32:33], s[26:27]
	v_fma_f64 v[36:37], v[38:39], s[22:23], -v[34:35]
	v_mul_f64 v[44:45], v[30:31], s[26:27]
	v_fmac_f64_e32 v[34:35], s[22:23], v[38:39]
	v_fma_f64 v[46:47], s[22:23], v[40:41], v[44:45]
	v_add_f64 v[34:35], v[34:35], v[42:43]
	v_fma_f64 v[42:43], v[40:41], s[22:23], -v[44:45]
	v_mul_f64 v[44:45], v[32:33], s[58:59]
	v_add_f64 v[36:37], v[36:37], v[48:49]
	v_fma_f64 v[48:49], v[38:39], s[44:45], -v[44:45]
	v_fmac_f64_e32 v[44:45], s[44:45], v[38:39]
	v_add_f64 v[42:43], v[42:43], v[50:51]
	v_mul_f64 v[50:51], v[30:31], s[58:59]
	v_add_f64 v[44:45], v[44:45], v[52:53]
	v_mul_f64 v[52:53], v[32:33], s[54:55]
	v_add_f64 v[46:47], v[46:47], v[58:59]
	v_add_f64 v[48:49], v[48:49], v[60:61]
	v_fma_f64 v[58:59], s[44:45], v[40:41], v[50:51]
	v_fma_f64 v[50:51], v[40:41], s[44:45], -v[50:51]
	v_fma_f64 v[60:61], v[38:39], s[20:21], -v[52:53]
	v_fmac_f64_e32 v[52:53], s[20:21], v[38:39]
	v_add_f64 v[50:51], v[50:51], v[62:63]
	v_mul_f64 v[62:63], v[30:31], s[54:55]
	v_add_f64 v[52:53], v[52:53], v[64:65]
	v_mul_f64 v[64:65], v[32:33], s[42:43]
	v_add_f64 v[58:59], v[58:59], v[66:67]
	v_add_f64 v[60:61], v[60:61], v[68:69]
	v_fma_f64 v[66:67], s[20:21], v[40:41], v[62:63]
	v_fma_f64 v[62:63], v[40:41], s[20:21], -v[62:63]
	v_fma_f64 v[68:69], v[38:39], s[12:13], -v[64:65]
	v_fmac_f64_e32 v[64:65], s[12:13], v[38:39]
	v_add_f64 v[62:63], v[62:63], v[74:75]
	v_mul_f64 v[74:75], v[30:31], s[42:43]
	v_add_f64 v[64:65], v[64:65], v[76:77]
	v_mul_f64 v[76:77], v[32:33], s[48:49]
	v_add_f64 v[66:67], v[66:67], v[80:81]
	v_add_f64 v[68:69], v[68:69], v[78:79]
	v_fma_f64 v[78:79], s[12:13], v[40:41], v[74:75]
	v_fma_f64 v[74:75], v[40:41], s[12:13], -v[74:75]
	v_fma_f64 v[80:81], v[38:39], s[46:47], -v[76:77]
	v_fmac_f64_e32 v[76:77], s[46:47], v[38:39]
	v_add_f64 v[74:75], v[74:75], v[82:83]
	v_mul_f64 v[82:83], v[30:31], s[48:49]
	v_add_f64 v[76:77], v[76:77], v[84:85]
	v_mul_f64 v[84:85], v[32:33], s[62:63]
	v_add_f64 v[78:79], v[78:79], v[86:87]
	v_add_f64 v[80:81], v[80:81], v[88:89]
	v_fma_f64 v[86:87], s[46:47], v[40:41], v[82:83]
	v_fma_f64 v[82:83], v[40:41], s[46:47], -v[82:83]
	v_fma_f64 v[88:89], v[38:39], s[8:9], -v[84:85]
	v_fmac_f64_e32 v[84:85], s[8:9], v[38:39]
	v_add_f64 v[82:83], v[82:83], v[90:91]
	v_mul_f64 v[90:91], v[30:31], s[62:63]
	v_add_f64 v[84:85], v[84:85], v[92:93]
	v_mul_f64 v[92:93], v[32:33], s[34:35]
	v_add_f64 v[86:87], v[86:87], v[94:95]
	v_add_f64 v[88:89], v[88:89], v[96:97]
	v_fma_f64 v[94:95], s[8:9], v[40:41], v[90:91]
	v_fma_f64 v[90:91], v[40:41], s[8:9], -v[90:91]
	v_fma_f64 v[96:97], v[38:39], s[24:25], -v[92:93]
	v_fmac_f64_e32 v[92:93], s[24:25], v[38:39]
	v_mul_f64 v[32:33], v[32:33], s[30:31]
	v_add_f64 v[90:91], v[90:91], v[98:99]
	v_mul_f64 v[98:99], v[30:31], s[34:35]
	v_add_f64 v[92:93], v[92:93], v[100:101]
	v_fma_f64 v[100:101], v[38:39], s[28:29], -v[32:33]
	v_mul_f64 v[30:31], v[30:31], s[30:31]
	v_fmac_f64_e32 v[32:33], s[28:29], v[38:39]
	v_add_f64 v[96:97], v[96:97], v[104:105]
	v_fma_f64 v[104:105], s[28:29], v[40:41], v[30:31]
	v_add_f64 v[18:19], v[32:33], v[18:19]
	v_fma_f64 v[30:31], v[40:41], s[28:29], -v[30:31]
	v_add_f64 v[32:33], v[24:25], v[28:29]
	v_add_f64 v[24:25], v[24:25], -v[28:29]
	v_add_f64 v[20:21], v[30:31], v[20:21]
	v_add_f64 v[30:31], v[22:23], v[26:27]
	v_add_f64 v[22:23], v[22:23], -v[26:27]
	v_mul_f64 v[26:27], v[24:25], s[30:31]
	v_fma_f64 v[28:29], v[30:31], s[28:29], -v[26:27]
	v_add_f64 v[116:117], v[116:117], v[124:125]
	v_add_f64 v[28:29], v[28:29], v[36:37]
	v_mul_f64 v[36:37], v[22:23], s[30:31]
	v_fmac_f64_e32 v[26:27], s[28:29], v[30:31]
	v_add_f64 v[102:103], v[102:103], v[116:117]
	v_fma_f64 v[38:39], s[28:29], v[32:33], v[36:37]
	v_add_f64 v[26:27], v[26:27], v[34:35]
	v_fma_f64 v[34:35], v[32:33], s[28:29], -v[36:37]
	v_mul_f64 v[36:37], v[24:25], s[56:57]
	v_add_f64 v[94:95], v[94:95], v[102:103]
	v_fma_f64 v[102:103], s[24:25], v[40:41], v[98:99]
	v_fma_f64 v[98:99], v[40:41], s[24:25], -v[98:99]
	v_fma_f64 v[40:41], v[30:31], s[22:23], -v[36:37]
	v_fmac_f64_e32 v[36:37], s[22:23], v[30:31]
	v_add_f64 v[34:35], v[34:35], v[42:43]
	v_mul_f64 v[42:43], v[22:23], s[56:57]
	v_add_f64 v[36:37], v[36:37], v[44:45]
	v_mul_f64 v[44:45], v[24:25], s[34:35]
	v_add_f64 v[38:39], v[38:39], v[46:47]
	v_add_f64 v[40:41], v[40:41], v[48:49]
	v_fma_f64 v[46:47], s[22:23], v[32:33], v[42:43]
	v_fma_f64 v[42:43], v[32:33], s[22:23], -v[42:43]
	v_fma_f64 v[48:49], v[30:31], s[24:25], -v[44:45]
	v_fmac_f64_e32 v[44:45], s[24:25], v[30:31]
	v_add_f64 v[42:43], v[42:43], v[50:51]
	v_mul_f64 v[50:51], v[22:23], s[34:35]
	v_add_f64 v[44:45], v[44:45], v[52:53]
	v_mul_f64 v[52:53], v[24:25], s[36:37]
	v_add_f64 v[46:47], v[46:47], v[58:59]
	;; [unrolled: 10-line block ×5, first 2 shown]
	v_add_f64 v[80:81], v[80:81], v[88:89]
	v_fma_f64 v[86:87], s[20:21], v[32:33], v[82:83]
	v_fma_f64 v[82:83], v[32:33], s[20:21], -v[82:83]
	v_fma_f64 v[88:89], v[30:31], s[46:47], -v[84:85]
	v_fmac_f64_e32 v[84:85], s[46:47], v[30:31]
	v_mul_f64 v[24:25], v[24:25], s[50:51]
	v_add_f64 v[82:83], v[82:83], v[90:91]
	v_mul_f64 v[90:91], v[22:23], s[48:49]
	v_add_f64 v[84:85], v[84:85], v[92:93]
	v_fma_f64 v[92:93], v[30:31], s[12:13], -v[24:25]
	v_mul_f64 v[22:23], v[22:23], s[50:51]
	v_fmac_f64_e32 v[24:25], s[12:13], v[30:31]
	v_add_f64 v[88:89], v[88:89], v[96:97]
	v_fma_f64 v[96:97], s[12:13], v[32:33], v[22:23]
	v_add_f64 v[18:19], v[24:25], v[18:19]
	v_fma_f64 v[22:23], v[32:33], s[12:13], -v[22:23]
	v_add_f64 v[24:25], v[12:13], v[16:17]
	v_add_f64 v[12:13], v[12:13], -v[16:17]
	v_add_f64 v[20:21], v[22:23], v[20:21]
	v_add_f64 v[22:23], v[10:11], v[14:15]
	v_add_f64 v[10:11], v[10:11], -v[14:15]
	v_mul_f64 v[14:15], v[12:13], s[36:37]
	v_fma_f64 v[16:17], v[22:23], s[44:45], -v[14:15]
	v_add_f64 v[16:17], v[16:17], v[28:29]
	v_mul_f64 v[28:29], v[10:11], s[36:37]
	v_fmac_f64_e32 v[14:15], s[44:45], v[22:23]
	v_fma_f64 v[30:31], s[44:45], v[24:25], v[28:29]
	v_add_f64 v[14:15], v[14:15], v[26:27]
	v_fma_f64 v[26:27], v[24:25], s[44:45], -v[28:29]
	v_mul_f64 v[28:29], v[12:13], s[50:51]
	v_add_f64 v[86:87], v[86:87], v[94:95]
	v_fma_f64 v[94:95], s[46:47], v[32:33], v[90:91]
	v_fma_f64 v[90:91], v[32:33], s[46:47], -v[90:91]
	v_add_f64 v[26:27], v[26:27], v[34:35]
	v_fma_f64 v[32:33], v[22:23], s[12:13], -v[28:29]
	v_mul_f64 v[34:35], v[10:11], s[50:51]
	v_fmac_f64_e32 v[28:29], s[12:13], v[22:23]
	v_add_f64 v[30:31], v[30:31], v[38:39]
	v_fma_f64 v[38:39], s[12:13], v[24:25], v[34:35]
	v_add_f64 v[28:29], v[28:29], v[36:37]
	v_fma_f64 v[34:35], v[24:25], s[12:13], -v[34:35]
	v_mul_f64 v[36:37], v[12:13], s[38:39]
	v_add_f64 v[32:33], v[32:33], v[40:41]
	v_add_f64 v[34:35], v[34:35], v[42:43]
	v_fma_f64 v[40:41], v[22:23], s[8:9], -v[36:37]
	v_mul_f64 v[42:43], v[10:11], s[38:39]
	v_fmac_f64_e32 v[36:37], s[8:9], v[22:23]
	v_add_f64 v[38:39], v[38:39], v[46:47]
	v_fma_f64 v[46:47], s[8:9], v[24:25], v[42:43]
	v_add_f64 v[36:37], v[36:37], v[44:45]
	v_fma_f64 v[42:43], v[24:25], s[8:9], -v[42:43]
	v_mul_f64 v[44:45], v[12:13], s[60:61]
	v_add_f64 v[40:41], v[40:41], v[48:49]
	v_add_f64 v[42:43], v[42:43], v[50:51]
	v_fma_f64 v[48:49], v[22:23], s[28:29], -v[44:45]
	v_mul_f64 v[50:51], v[10:11], s[60:61]
	v_fmac_f64_e32 v[44:45], s[28:29], v[22:23]
	v_add_f64 v[108:109], v[108:109], v[114:115]
	v_add_f64 v[98:99], v[98:99], v[106:107]
	v_add_f64 v[46:47], v[46:47], v[58:59]
	v_fma_f64 v[58:59], s[28:29], v[24:25], v[50:51]
	v_add_f64 v[44:45], v[44:45], v[52:53]
	v_mul_f64 v[52:53], v[12:13], s[34:35]
	v_add_f64 v[100:101], v[100:101], v[108:109]
	v_add_f64 v[90:91], v[90:91], v[98:99]
	;; [unrolled: 1-line block ×3, first 2 shown]
	v_fma_f64 v[58:59], v[22:23], s[24:25], -v[52:53]
	v_add_f64 v[92:93], v[92:93], v[100:101]
	v_add_f64 v[100:101], v[58:59], v[68:69]
	v_mul_f64 v[58:59], v[10:11], s[34:35]
	v_add_f64 v[128:129], v[134:135], v[128:129]
	v_add_f64 v[48:49], v[48:49], v[60:61]
	v_fma_f64 v[60:61], s[24:25], v[24:25], v[58:59]
	v_fma_f64 v[58:59], v[24:25], s[24:25], -v[58:59]
	v_add_f64 v[126:127], v[126:127], v[132:133]
	v_add_f64 v[120:121], v[120:121], v[128:129]
	;; [unrolled: 1-line block ×3, first 2 shown]
	v_mul_f64 v[58:59], v[12:13], s[48:49]
	v_add_f64 v[118:119], v[118:119], v[126:127]
	v_add_f64 v[112:113], v[112:113], v[120:121]
	;; [unrolled: 1-line block ×3, first 2 shown]
	v_fma_f64 v[60:61], v[22:23], s[46:47], -v[58:59]
	v_add_f64 v[110:111], v[110:111], v[118:119]
	v_add_f64 v[102:103], v[102:103], v[112:113]
	;; [unrolled: 1-line block ×3, first 2 shown]
	v_mul_f64 v[60:61], v[10:11], s[48:49]
	v_fmac_f64_e32 v[58:59], s[46:47], v[22:23]
	v_add_f64 v[112:113], v[4:5], -v[8:9]
	v_add_f64 v[104:105], v[104:105], v[110:111]
	v_add_f64 v[76:77], v[58:59], v[76:77]
	v_fma_f64 v[58:59], v[24:25], s[46:47], -v[60:61]
	v_add_f64 v[106:107], v[2:3], v[6:7]
	v_add_f64 v[110:111], v[2:3], -v[6:7]
	v_mul_f64 v[2:3], v[112:113], s[48:49]
	v_fma_f64 v[50:51], v[24:25], s[28:29], -v[50:51]
	v_add_f64 v[82:83], v[58:59], v[82:83]
	v_mul_f64 v[58:59], v[12:13], s[54:55]
	v_add_f64 v[108:109], v[4:5], v[8:9]
	v_fma_f64 v[4:5], v[106:107], s[46:47], -v[2:3]
	v_add_f64 v[50:51], v[50:51], v[62:63]
	v_fma_f64 v[62:63], s[46:47], v[24:25], v[60:61]
	v_fma_f64 v[60:61], v[22:23], s[20:21], -v[58:59]
	v_add_f64 v[66:67], v[4:5], v[16:17]
	v_mul_f64 v[4:5], v[110:111], s[48:49]
	v_add_f64 v[88:89], v[60:61], v[88:89]
	v_mul_f64 v[60:61], v[10:11], s[54:55]
	v_fmac_f64_e32 v[58:59], s[20:21], v[22:23]
	v_fma_f64 v[6:7], s[46:47], v[108:109], v[4:5]
	v_add_f64 v[84:85], v[58:59], v[84:85]
	v_fma_f64 v[58:59], v[24:25], s[20:21], -v[60:61]
	v_mul_f64 v[12:13], v[12:13], s[26:27]
	v_add_f64 v[68:69], v[6:7], v[30:31]
	v_mul_f64 v[6:7], v[112:113], s[52:53]
	v_add_f64 v[94:95], v[94:95], v[102:103]
	v_add_f64 v[86:87], v[62:63], v[86:87]
	v_fma_f64 v[62:63], s[20:21], v[24:25], v[60:61]
	v_add_f64 v[90:91], v[58:59], v[90:91]
	v_fma_f64 v[58:59], v[22:23], s[22:23], -v[12:13]
	v_mul_f64 v[10:11], v[10:11], s[26:27]
	v_fma_f64 v[8:9], v[106:107], s[24:25], -v[6:7]
	v_add_f64 v[94:95], v[62:63], v[94:95]
	v_add_f64 v[92:93], v[58:59], v[92:93]
	v_fma_f64 v[58:59], s[22:23], v[24:25], v[10:11]
	v_fma_f64 v[10:11], v[24:25], s[22:23], -v[10:11]
	v_add_f64 v[62:63], v[8:9], v[32:33]
	v_mul_f64 v[8:9], v[110:111], s[52:53]
	v_add_f64 v[96:97], v[96:97], v[104:105]
	v_fmac_f64_e32 v[52:53], s[24:25], v[22:23]
	v_add_f64 v[104:105], v[10:11], v[20:21]
	v_fma_f64 v[10:11], s[24:25], v[108:109], v[8:9]
	v_add_f64 v[52:53], v[52:53], v[64:65]
	v_fmac_f64_e32 v[12:13], s[22:23], v[22:23]
	v_add_f64 v[64:65], v[10:11], v[38:39]
	v_mul_f64 v[10:11], v[112:113], s[36:37]
	v_add_f64 v[102:103], v[12:13], v[18:19]
	v_fma_f64 v[12:13], v[106:107], s[44:45], -v[10:11]
	v_add_f64 v[96:97], v[58:59], v[96:97]
	v_fmac_f64_e32 v[2:3], s[46:47], v[106:107]
	v_add_f64 v[58:59], v[12:13], v[40:41]
	v_mul_f64 v[12:13], v[110:111], s[36:37]
	v_add_f64 v[2:3], v[2:3], v[14:15]
	v_fma_f64 v[14:15], s[44:45], v[108:109], v[12:13]
	v_add_f64 v[60:61], v[14:15], v[46:47]
	v_mul_f64 v[14:15], v[112:113], s[54:55]
	v_fma_f64 v[8:9], v[108:109], s[24:25], -v[8:9]
	v_fma_f64 v[16:17], v[106:107], s[20:21], -v[14:15]
	v_add_f64 v[8:9], v[8:9], v[34:35]
	v_add_f64 v[34:35], v[16:17], v[48:49]
	v_mul_f64 v[16:17], v[110:111], s[54:55]
	v_fmac_f64_e32 v[10:11], s[44:45], v[106:107]
	v_fma_f64 v[18:19], s[20:21], v[108:109], v[16:17]
	v_add_f64 v[10:11], v[10:11], v[36:37]
	v_add_f64 v[36:37], v[18:19], v[98:99]
	v_mul_f64 v[18:19], v[112:113], s[30:31]
	v_fma_f64 v[20:21], v[106:107], s[28:29], -v[18:19]
	v_add_f64 v[38:39], v[20:21], v[100:101]
	v_mul_f64 v[20:21], v[110:111], s[30:31]
	v_fma_f64 v[22:23], s[28:29], v[108:109], v[20:21]
	v_fma_f64 v[20:21], v[108:109], s[28:29], -v[20:21]
	v_add_f64 v[20:21], v[20:21], v[74:75]
	v_mul_lo_u32 v1, v73, s0
	v_mul_lo_u32 v74, v72, s1
	v_mad_u64_u32 v[72:73], s[0:1], v72, s0, 0
	s_lshl_b64 s[0:1], s[14:15], 4
	s_add_u32 s4, s10, s0
	v_add_f64 v[40:41], v[22:23], v[78:79]
	v_mul_f64 v[22:23], v[112:113], s[50:51]
	s_addc_u32 s5, s11, s1
	s_lshl_b64 s[0:1], s[2:3], 4
	v_fma_f64 v[12:13], v[108:109], s[44:45], -v[12:13]
	v_fma_f64 v[24:25], v[106:107], s[12:13], -v[22:23]
	s_add_u32 s0, s4, s0
	v_fma_f64 v[4:5], v[108:109], s[46:47], -v[4:5]
	v_add_f64 v[12:13], v[12:13], v[42:43]
	v_add_f64 v[42:43], v[24:25], v[80:81]
	v_mul_f64 v[24:25], v[110:111], s[50:51]
	v_add3_u32 v73, v73, v74, v1
	s_addc_u32 s1, s5, s1
	v_add_f64 v[4:5], v[4:5], v[26:27]
	v_fmac_f64_e32 v[14:15], s[20:21], v[106:107]
	v_fma_f64 v[26:27], s[12:13], v[108:109], v[24:25]
	v_lshl_add_u64 v[0:1], v[72:73], 4, s[0:1]
	v_fmac_f64_e32 v[6:7], s[24:25], v[106:107]
	v_add_f64 v[14:15], v[14:15], v[44:45]
	v_add_f64 v[44:45], v[26:27], v[86:87]
	v_mul_f64 v[26:27], v[112:113], s[26:27]
	v_lshl_add_u64 v[72:73], v[70:71], 4, v[0:1]
	v_add_u32_e32 v70, s16, v70
	v_add_f64 v[6:7], v[6:7], v[28:29]
	v_fma_f64 v[28:29], v[106:107], s[22:23], -v[26:27]
	global_store_dwordx4 v[72:73], v[54:57], off
	v_add_f64 v[46:47], v[28:29], v[88:89]
	v_mul_f64 v[28:29], v[110:111], s[26:27]
	v_lshl_add_u64 v[54:55], v[70:71], 4, v[0:1]
	v_add_u32_e32 v70, s16, v70
	global_store_dwordx4 v[54:55], v[66:69], off
	v_lshl_add_u64 v[54:55], v[70:71], 4, v[0:1]
	v_add_u32_e32 v70, s16, v70
	v_fma_f64 v[30:31], s[22:23], v[108:109], v[28:29]
	global_store_dwordx4 v[54:55], v[62:65], off
	v_lshl_add_u64 v[54:55], v[70:71], 4, v[0:1]
	v_add_u32_e32 v70, s16, v70
	v_add_f64 v[48:49], v[30:31], v[94:95]
	v_mul_f64 v[30:31], v[112:113], s[62:63]
	global_store_dwordx4 v[54:55], v[58:61], off
	v_lshl_add_u64 v[54:55], v[70:71], 4, v[0:1]
	v_add_u32_e32 v70, s16, v70
	v_fma_f64 v[16:17], v[108:109], s[20:21], -v[16:17]
	v_fma_f64 v[32:33], v[106:107], s[8:9], -v[30:31]
	global_store_dwordx4 v[54:55], v[34:37], off
	v_add_f64 v[16:17], v[16:17], v[50:51]
	v_fmac_f64_e32 v[18:19], s[28:29], v[106:107]
	v_lshl_add_u64 v[34:35], v[70:71], 4, v[0:1]
	v_add_u32_e32 v70, s16, v70
	v_add_f64 v[50:51], v[32:33], v[92:93]
	v_mul_f64 v[32:33], v[110:111], s[62:63]
	global_store_dwordx4 v[34:35], v[38:41], off
	v_lshl_add_u64 v[34:35], v[70:71], 4, v[0:1]
	v_add_u32_e32 v70, s16, v70
	v_add_f64 v[18:19], v[18:19], v[52:53]
	v_fma_f64 v[52:53], s[8:9], v[108:109], v[32:33]
	global_store_dwordx4 v[34:35], v[42:45], off
	v_lshl_add_u64 v[34:35], v[70:71], 4, v[0:1]
	v_add_u32_e32 v70, s16, v70
	v_add_f64 v[52:53], v[52:53], v[96:97]
	v_fmac_f64_e32 v[30:31], s[8:9], v[106:107]
	v_fma_f64 v[32:33], v[108:109], s[8:9], -v[32:33]
	global_store_dwordx4 v[34:35], v[46:49], off
	v_lshl_add_u64 v[34:35], v[70:71], 4, v[0:1]
	v_add_u32_e32 v70, s16, v70
	v_fmac_f64_e32 v[26:27], s[22:23], v[106:107]
	v_fma_f64 v[28:29], v[108:109], s[22:23], -v[28:29]
	v_add_f64 v[30:31], v[30:31], v[102:103]
	v_add_f64 v[32:33], v[32:33], v[104:105]
	global_store_dwordx4 v[34:35], v[50:53], off
	v_lshl_add_u64 v[34:35], v[70:71], 4, v[0:1]
	v_add_u32_e32 v70, s16, v70
	v_fmac_f64_e32 v[22:23], s[12:13], v[106:107]
	v_fma_f64 v[24:25], v[108:109], s[12:13], -v[24:25]
	v_add_f64 v[26:27], v[26:27], v[84:85]
	v_add_f64 v[28:29], v[28:29], v[90:91]
	global_store_dwordx4 v[34:35], v[30:33], off
	v_add_f64 v[22:23], v[22:23], v[76:77]
	v_add_f64 v[24:25], v[24:25], v[82:83]
	v_lshl_add_u64 v[30:31], v[70:71], 4, v[0:1]
	v_add_u32_e32 v70, s16, v70
	global_store_dwordx4 v[30:31], v[26:29], off
	s_nop 1
	v_lshl_add_u64 v[26:27], v[70:71], 4, v[0:1]
	v_add_u32_e32 v70, s16, v70
	global_store_dwordx4 v[26:27], v[22:25], off
	s_nop 1
	;; [unrolled: 4-line block ×5, first 2 shown]
	v_lshl_add_u64 v[10:11], v[70:71], 4, v[0:1]
	v_add_u32_e32 v70, s16, v70
	v_lshl_add_u64 v[0:1], v[70:71], 4, v[0:1]
	global_store_dwordx4 v[10:11], v[6:9], off
	global_store_dwordx4 v[0:1], v[2:5], off
	s_endpgm
	.section	.rodata,"a",@progbits
	.p2align	6, 0x0
	.amdhsa_kernel fft_rtc_fwd_len289_factors_17_17_wgs_119_tpt_17_dp_op_CI_CI_sbrc_z_xy_diag_dirReg
		.amdhsa_group_segment_fixed_size 0
		.amdhsa_private_segment_fixed_size 0
		.amdhsa_kernarg_size 104
		.amdhsa_user_sgpr_count 2
		.amdhsa_user_sgpr_dispatch_ptr 0
		.amdhsa_user_sgpr_queue_ptr 0
		.amdhsa_user_sgpr_kernarg_segment_ptr 1
		.amdhsa_user_sgpr_dispatch_id 0
		.amdhsa_user_sgpr_kernarg_preload_length 0
		.amdhsa_user_sgpr_kernarg_preload_offset 0
		.amdhsa_user_sgpr_private_segment_size 0
		.amdhsa_uses_dynamic_stack 0
		.amdhsa_enable_private_segment 0
		.amdhsa_system_sgpr_workgroup_id_x 1
		.amdhsa_system_sgpr_workgroup_id_y 0
		.amdhsa_system_sgpr_workgroup_id_z 0
		.amdhsa_system_sgpr_workgroup_info 0
		.amdhsa_system_vgpr_workitem_id 0
		.amdhsa_next_free_vgpr 136
		.amdhsa_next_free_sgpr 67
		.amdhsa_accum_offset 136
		.amdhsa_reserve_vcc 0
		.amdhsa_float_round_mode_32 0
		.amdhsa_float_round_mode_16_64 0
		.amdhsa_float_denorm_mode_32 3
		.amdhsa_float_denorm_mode_16_64 3
		.amdhsa_dx10_clamp 1
		.amdhsa_ieee_mode 1
		.amdhsa_fp16_overflow 0
		.amdhsa_tg_split 0
		.amdhsa_exception_fp_ieee_invalid_op 0
		.amdhsa_exception_fp_denorm_src 0
		.amdhsa_exception_fp_ieee_div_zero 0
		.amdhsa_exception_fp_ieee_overflow 0
		.amdhsa_exception_fp_ieee_underflow 0
		.amdhsa_exception_fp_ieee_inexact 0
		.amdhsa_exception_int_div_zero 0
	.end_amdhsa_kernel
	.text
.Lfunc_end0:
	.size	fft_rtc_fwd_len289_factors_17_17_wgs_119_tpt_17_dp_op_CI_CI_sbrc_z_xy_diag_dirReg, .Lfunc_end0-fft_rtc_fwd_len289_factors_17_17_wgs_119_tpt_17_dp_op_CI_CI_sbrc_z_xy_diag_dirReg
                                        ; -- End function
	.section	.AMDGPU.csdata,"",@progbits
; Kernel info:
; codeLenInByte = 15284
; NumSgprs: 73
; NumVgprs: 136
; NumAgprs: 0
; TotalNumVgprs: 136
; ScratchSize: 0
; MemoryBound: 0
; FloatMode: 240
; IeeeMode: 1
; LDSByteSize: 0 bytes/workgroup (compile time only)
; SGPRBlocks: 9
; VGPRBlocks: 16
; NumSGPRsForWavesPerEU: 73
; NumVGPRsForWavesPerEU: 136
; AccumOffset: 136
; Occupancy: 3
; WaveLimiterHint : 1
; COMPUTE_PGM_RSRC2:SCRATCH_EN: 0
; COMPUTE_PGM_RSRC2:USER_SGPR: 2
; COMPUTE_PGM_RSRC2:TRAP_HANDLER: 0
; COMPUTE_PGM_RSRC2:TGID_X_EN: 1
; COMPUTE_PGM_RSRC2:TGID_Y_EN: 0
; COMPUTE_PGM_RSRC2:TGID_Z_EN: 0
; COMPUTE_PGM_RSRC2:TIDIG_COMP_CNT: 0
; COMPUTE_PGM_RSRC3_GFX90A:ACCUM_OFFSET: 33
; COMPUTE_PGM_RSRC3_GFX90A:TG_SPLIT: 0
	.text
	.p2alignl 6, 3212836864
	.fill 256, 4, 3212836864
	.type	__hip_cuid_145f4ff73925d9df,@object ; @__hip_cuid_145f4ff73925d9df
	.section	.bss,"aw",@nobits
	.globl	__hip_cuid_145f4ff73925d9df
__hip_cuid_145f4ff73925d9df:
	.byte	0                               ; 0x0
	.size	__hip_cuid_145f4ff73925d9df, 1

	.ident	"AMD clang version 19.0.0git (https://github.com/RadeonOpenCompute/llvm-project roc-6.4.0 25133 c7fe45cf4b819c5991fe208aaa96edf142730f1d)"
	.section	".note.GNU-stack","",@progbits
	.addrsig
	.addrsig_sym __hip_cuid_145f4ff73925d9df
	.amdgpu_metadata
---
amdhsa.kernels:
  - .agpr_count:     0
    .args:
      - .actual_access:  read_only
        .address_space:  global
        .offset:         0
        .size:           8
        .value_kind:     global_buffer
      - .offset:         8
        .size:           8
        .value_kind:     by_value
      - .actual_access:  read_only
        .address_space:  global
        .offset:         16
        .size:           8
        .value_kind:     global_buffer
      - .actual_access:  read_only
        .address_space:  global
        .offset:         24
        .size:           8
        .value_kind:     global_buffer
      - .actual_access:  read_only
        .address_space:  global
        .offset:         32
        .size:           8
        .value_kind:     global_buffer
      - .offset:         40
        .size:           8
        .value_kind:     by_value
      - .actual_access:  read_only
        .address_space:  global
        .offset:         48
        .size:           8
        .value_kind:     global_buffer
      - .actual_access:  read_only
        .address_space:  global
        .offset:         56
        .size:           8
        .value_kind:     global_buffer
      - .offset:         64
        .size:           4
        .value_kind:     by_value
      - .actual_access:  read_only
        .address_space:  global
        .offset:         72
        .size:           8
        .value_kind:     global_buffer
      - .actual_access:  read_only
        .address_space:  global
        .offset:         80
        .size:           8
        .value_kind:     global_buffer
      - .actual_access:  read_only
        .address_space:  global
        .offset:         88
        .size:           8
        .value_kind:     global_buffer
      - .actual_access:  write_only
        .address_space:  global
        .offset:         96
        .size:           8
        .value_kind:     global_buffer
    .group_segment_fixed_size: 0
    .kernarg_segment_align: 8
    .kernarg_segment_size: 104
    .language:       OpenCL C
    .language_version:
      - 2
      - 0
    .max_flat_workgroup_size: 119
    .name:           fft_rtc_fwd_len289_factors_17_17_wgs_119_tpt_17_dp_op_CI_CI_sbrc_z_xy_diag_dirReg
    .private_segment_fixed_size: 0
    .sgpr_count:     73
    .sgpr_spill_count: 0
    .symbol:         fft_rtc_fwd_len289_factors_17_17_wgs_119_tpt_17_dp_op_CI_CI_sbrc_z_xy_diag_dirReg.kd
    .uniform_work_group_size: 1
    .uses_dynamic_stack: false
    .vgpr_count:     136
    .vgpr_spill_count: 0
    .wavefront_size: 64
amdhsa.target:   amdgcn-amd-amdhsa--gfx950
amdhsa.version:
  - 1
  - 2
...

	.end_amdgpu_metadata
